;; amdgpu-corpus repo=ROCm/rocFFT kind=compiled arch=gfx906 opt=O3
	.text
	.amdgcn_target "amdgcn-amd-amdhsa--gfx906"
	.amdhsa_code_object_version 6
	.protected	bluestein_single_back_len875_dim1_half_op_CI_CI ; -- Begin function bluestein_single_back_len875_dim1_half_op_CI_CI
	.globl	bluestein_single_back_len875_dim1_half_op_CI_CI
	.p2align	8
	.type	bluestein_single_back_len875_dim1_half_op_CI_CI,@function
bluestein_single_back_len875_dim1_half_op_CI_CI: ; @bluestein_single_back_len875_dim1_half_op_CI_CI
; %bb.0:
	s_load_dwordx4 s[0:3], s[4:5], 0x28
	v_mul_u32_u24_e32 v1, 0x177, v0
	v_add_u32_sdwa v12, s6, v1 dst_sel:DWORD dst_unused:UNUSED_PAD src0_sel:DWORD src1_sel:WORD_1
	v_mov_b32_e32 v13, 0
	s_waitcnt lgkmcnt(0)
	v_cmp_gt_u64_e32 vcc, s[0:1], v[12:13]
	s_and_saveexec_b64 s[0:1], vcc
	s_cbranch_execz .LBB0_15
; %bb.1:
	s_load_dwordx2 s[12:13], s[4:5], 0x0
	s_load_dwordx2 s[6:7], s[4:5], 0x38
	s_movk_i32 s0, 0xaf
	v_mul_lo_u16_sdwa v1, v1, s0 dst_sel:DWORD dst_unused:UNUSED_PAD src0_sel:WORD_1 src1_sel:DWORD
	v_sub_u16_e32 v20, v0, v1
	s_movk_i32 s0, 0x7d
	v_cmp_gt_u16_e32 vcc, s0, v20
	v_lshlrev_b32_e32 v19, 2, v20
	s_and_saveexec_b64 s[8:9], vcc
	s_cbranch_execz .LBB0_3
; %bb.2:
	s_load_dwordx2 s[0:1], s[4:5], 0x18
	s_waitcnt lgkmcnt(0)
	s_load_dwordx4 s[16:19], s[0:1], 0x0
	s_waitcnt lgkmcnt(0)
	v_mad_u64_u32 v[0:1], s[0:1], s18, v12, 0
	v_mad_u64_u32 v[2:3], s[0:1], s16, v20, 0
	;; [unrolled: 1-line block ×4, first 2 shown]
	v_mov_b32_e32 v1, v4
	v_lshlrev_b64 v[0:1], 2, v[0:1]
	v_mov_b32_e32 v3, v5
	v_mov_b32_e32 v6, s3
	v_lshlrev_b64 v[2:3], 2, v[2:3]
	v_add_co_u32_e64 v0, s[0:1], s2, v0
	v_addc_co_u32_e64 v1, s[0:1], v6, v1, s[0:1]
	v_add_co_u32_e64 v0, s[0:1], v0, v2
	v_addc_co_u32_e64 v1, s[0:1], v1, v3, s[0:1]
	s_mul_i32 s0, s17, 0x1f4
	s_mul_hi_u32 s1, s16, 0x1f4
	s_add_i32 s2, s1, s0
	s_mul_i32 s3, s16, 0x1f4
	v_mov_b32_e32 v3, s2
	v_add_co_u32_e64 v2, s[0:1], s3, v0
	v_addc_co_u32_e64 v3, s[0:1], v1, v3, s[0:1]
	v_mov_b32_e32 v4, s2
	global_load_dword v5, v[0:1], off
	global_load_dword v6, v[2:3], off
	global_load_dword v7, v19, s[12:13]
	global_load_dword v8, v19, s[12:13] offset:500
	v_add_co_u32_e64 v0, s[0:1], s3, v2
	v_addc_co_u32_e64 v1, s[0:1], v3, v4, s[0:1]
	global_load_dword v2, v[0:1], off
	global_load_dword v3, v19, s[12:13] offset:1000
	v_add_co_u32_e64 v0, s[0:1], s3, v0
	v_addc_co_u32_e64 v1, s[0:1], v1, v4, s[0:1]
	global_load_dword v9, v[0:1], off
	;; [unrolled: 4-line block ×3, first 2 shown]
	global_load_dword v11, v19, s[12:13] offset:2000
	v_mov_b32_e32 v13, s2
	v_add_co_u32_e64 v0, s[0:1], s3, v0
	v_addc_co_u32_e64 v1, s[0:1], v1, v13, s[0:1]
	global_load_dword v13, v[0:1], off
	global_load_dword v14, v19, s[12:13] offset:2500
	v_mov_b32_e32 v15, s2
	v_add_co_u32_e64 v0, s[0:1], s3, v0
	v_addc_co_u32_e64 v1, s[0:1], v1, v15, s[0:1]
	global_load_dword v15, v[0:1], off
	global_load_dword v16, v19, s[12:13] offset:3000
	v_add_u32_e32 v0, 0x200, v19
	v_add_u32_e32 v1, 0x600, v19
	s_waitcnt vmcnt(13)
	v_lshrrev_b32_e32 v17, 16, v5
	s_waitcnt vmcnt(12)
	v_lshrrev_b32_e32 v21, 16, v6
	s_waitcnt vmcnt(11)
	v_mul_f16_sdwa v18, v7, v5 dst_sel:DWORD dst_unused:UNUSED_PAD src0_sel:WORD_1 src1_sel:DWORD
	v_fma_f16 v18, v7, v17, -v18
	v_mul_f16_sdwa v17, v7, v17 dst_sel:DWORD dst_unused:UNUSED_PAD src0_sel:WORD_1 src1_sel:DWORD
	s_waitcnt vmcnt(10)
	v_mul_f16_sdwa v22, v8, v6 dst_sel:DWORD dst_unused:UNUSED_PAD src0_sel:WORD_1 src1_sel:DWORD
	v_fma_f16 v5, v7, v5, v17
	v_fma_f16 v7, v8, v21, -v22
	v_mul_f16_sdwa v17, v8, v21 dst_sel:DWORD dst_unused:UNUSED_PAD src0_sel:WORD_1 src1_sel:DWORD
	s_waitcnt vmcnt(9)
	v_lshrrev_b32_e32 v21, 16, v2
	s_waitcnt vmcnt(8)
	v_mul_f16_sdwa v22, v3, v2 dst_sel:DWORD dst_unused:UNUSED_PAD src0_sel:WORD_1 src1_sel:DWORD
	v_fma_f16 v6, v8, v6, v17
	v_mul_f16_sdwa v17, v3, v21 dst_sel:DWORD dst_unused:UNUSED_PAD src0_sel:WORD_1 src1_sel:DWORD
	v_pack_b32_f16 v5, v5, v18
	s_waitcnt vmcnt(7)
	v_lshrrev_b32_e32 v18, 16, v9
	v_fma_f16 v8, v3, v21, -v22
	s_waitcnt vmcnt(6)
	v_mul_f16_sdwa v21, v10, v9 dst_sel:DWORD dst_unused:UNUSED_PAD src0_sel:WORD_1 src1_sel:DWORD
	v_fma_f16 v2, v3, v2, v17
	v_pack_b32_f16 v3, v6, v7
	v_mul_f16_sdwa v7, v10, v18 dst_sel:DWORD dst_unused:UNUSED_PAD src0_sel:WORD_1 src1_sel:DWORD
	s_waitcnt vmcnt(5)
	v_lshrrev_b32_e32 v17, 16, v4
	v_fma_f16 v6, v10, v18, -v21
	ds_write2_b32 v19, v5, v3 offset1:125
	v_pack_b32_f16 v2, v2, v8
	v_fma_f16 v3, v10, v9, v7
	s_waitcnt vmcnt(4)
	v_mul_f16_sdwa v5, v11, v17 dst_sel:DWORD dst_unused:UNUSED_PAD src0_sel:WORD_1 src1_sel:DWORD
	s_waitcnt vmcnt(3)
	v_lshrrev_b32_e32 v8, 16, v13
	v_mul_f16_sdwa v18, v11, v4 dst_sel:DWORD dst_unused:UNUSED_PAD src0_sel:WORD_1 src1_sel:DWORD
	s_waitcnt vmcnt(2)
	v_mul_f16_sdwa v9, v14, v13 dst_sel:DWORD dst_unused:UNUSED_PAD src0_sel:WORD_1 src1_sel:DWORD
	v_pack_b32_f16 v3, v3, v6
	v_fma_f16 v4, v11, v4, v5
	v_mul_f16_sdwa v5, v14, v8 dst_sel:DWORD dst_unused:UNUSED_PAD src0_sel:WORD_1 src1_sel:DWORD
	v_fma_f16 v7, v11, v17, -v18
	v_fma_f16 v6, v14, v8, -v9
	ds_write2_b32 v0, v2, v3 offset0:122 offset1:247
	v_fma_f16 v2, v14, v13, v5
	v_pack_b32_f16 v0, v4, v7
	v_pack_b32_f16 v2, v2, v6
	ds_write2_b32 v1, v0, v2 offset0:116 offset1:241
	s_waitcnt vmcnt(1)
	v_lshrrev_b32_e32 v0, 16, v15
	s_waitcnt vmcnt(0)
	v_mul_f16_sdwa v1, v16, v0 dst_sel:DWORD dst_unused:UNUSED_PAD src0_sel:WORD_1 src1_sel:DWORD
	v_mul_f16_sdwa v2, v16, v15 dst_sel:DWORD dst_unused:UNUSED_PAD src0_sel:WORD_1 src1_sel:DWORD
	v_fma_f16 v1, v16, v15, v1
	v_fma_f16 v0, v16, v0, -v2
	v_pack_b32_f16 v0, v1, v0
	ds_write_b32 v19, v0 offset:3000
.LBB0_3:
	s_or_b64 exec, exec, s[8:9]
	s_load_dwordx2 s[2:3], s[4:5], 0x20
	s_load_dwordx2 s[0:1], s[4:5], 0x8
	v_mov_b32_e32 v1, 0
	v_mov_b32_e32 v2, 0
	;; [unrolled: 1-line block ×4, first 2 shown]
	s_waitcnt lgkmcnt(0)
	s_barrier
	s_waitcnt lgkmcnt(0)
                                        ; implicit-def: $vgpr6
	s_and_saveexec_b64 s[4:5], vcc
	s_cbranch_execz .LBB0_5
; %bb.4:
	v_add_u32_e32 v0, 0x200, v19
	ds_read2_b32 v[2:3], v0 offset0:122 offset1:247
	v_add_u32_e32 v0, 0x600, v19
	ds_read2_b32 v[4:5], v0 offset0:116 offset1:241
	ds_read_b32 v6, v19 offset:3000
	ds_read2_b32 v[0:1], v19 offset1:125
.LBB0_5:
	s_or_b64 exec, exec, s[4:5]
	s_waitcnt lgkmcnt(0)
	v_pk_add_f16 v7, v6, v1
	v_pk_add_f16 v8, v5, v2
	v_pk_add_f16 v9, v2, v5 neg_lo:[0,1] neg_hi:[0,1]
	v_pk_add_f16 v5, v3, v4
	v_pk_add_f16 v3, v4, v3 neg_lo:[0,1] neg_hi:[0,1]
	v_pk_add_f16 v6, v1, v6 neg_lo:[0,1] neg_hi:[0,1]
	v_pk_add_f16 v2, v7, v8
	v_pk_add_f16 v1, v8, v7 neg_lo:[0,1] neg_hi:[0,1]
	v_pk_add_f16 v4, v7, v5 neg_lo:[0,1] neg_hi:[0,1]
	v_pk_add_f16 v7, v9, v3 op_sel:[1,1] op_sel_hi:[0,0]
	s_movk_i32 s4, 0x3a52
	v_pk_add_f16 v10, v6, v3 op_sel:[1,1] op_sel_hi:[0,0] neg_lo:[0,1] neg_hi:[0,1]
	v_pk_add_f16 v13, v2, v5
	v_pk_add_f16 v2, v6, v7 op_sel:[1,0] op_sel_hi:[0,1]
	v_pk_mul_f16 v7, v4, s4 op_sel_hi:[1,0]
	v_pk_add_f16 v3, v3, v9 op_sel:[1,1] op_sel_hi:[0,0] neg_lo:[0,1] neg_hi:[0,1]
	s_mov_b32 s4, 0xb846
	v_pk_add_f16 v11, v9, v6 op_sel:[1,1] op_sel_hi:[0,0] neg_lo:[0,1] neg_hi:[0,1]
	v_pk_mul_f16 v3, v3, s4 op_sel_hi:[1,0]
	s_movk_i32 s4, 0x3b00
	v_pk_add_f16 v0, v13, v0
	v_pk_mul_f16 v6, v11, s4 op_sel_hi:[1,0]
	s_mov_b32 s4, 0xbcab
	s_movk_i32 s8, 0x39e0
	v_pk_add_f16 v5, v5, v8 neg_lo:[0,1] neg_hi:[0,1]
	s_movk_i32 s10, 0x2b26
	v_pk_fma_f16 v4, v13, s4, v0 op_sel_hi:[1,0,1]
	s_movk_i32 s4, 0x3574
	s_movk_i32 s9, 0x370e
	v_pk_fma_f16 v8, v5, s10, v7 op_sel_hi:[1,0,1]
	v_pk_fma_f16 v7, v1, s8, v7 op_sel_hi:[1,0,1] neg_lo:[1,0,1] neg_hi:[1,0,1]
	v_pk_fma_f16 v9, v10, s4, v3 op_sel_hi:[1,0,1]
	v_pk_fma_f16 v10, v10, s4, v6 op_sel_hi:[1,0,1] neg_lo:[1,0,1] neg_hi:[1,0,1]
	v_pk_add_f16 v11, v8, v4
	v_pk_add_f16 v8, v7, v4
	v_pk_fma_f16 v13, v2, s9, v9 op_sel_hi:[1,0,1]
	v_pk_fma_f16 v9, v2, s9, v10 op_sel_hi:[1,0,1]
	v_pk_add_f16 v7, v8, v9 neg_lo:[0,1] neg_hi:[0,1]
	v_pk_add_f16 v8, v8, v9
	s_mov_b32 s14, 0xffff
	v_pk_add_f16 v9, v11, v13 neg_lo:[0,1] neg_hi:[0,1]
	v_pk_add_f16 v10, v11, v13
	v_bfi_b32 v14, s14, v7, v8
	v_bfi_b32 v21, s14, v9, v10
	v_mul_lo_u16_e32 v22, 7, v20
	s_barrier
	s_and_saveexec_b64 s[4:5], vcc
	s_cbranch_execz .LBB0_7
; %bb.6:
	v_pk_mul_f16 v1, v1, s8 op_sel_hi:[1,0]
	v_pk_mul_f16 v5, v5, s10 op_sel_hi:[1,0]
	;; [unrolled: 1-line block ×3, first 2 shown]
	v_pk_add_f16 v3, v6, v3 neg_lo:[0,1] neg_hi:[0,1]
	v_pk_add_f16 v1, v1, v5 neg_lo:[0,1] neg_hi:[0,1]
	v_pk_add_f16 v2, v3, v2
	v_pk_add_f16 v1, v1, v4
	v_lshlrev_b32_e32 v11, 2, v22
	v_bfi_b32 v9, s14, v10, v9
	v_pk_add_f16 v3, v1, v2 neg_lo:[0,1] neg_hi:[0,1]
	v_pk_add_f16 v1, v1, v2
	ds_write2_b32 v11, v0, v9 offset1:1
	v_bfi_b32 v0, s14, v8, v7
	v_bfi_b32 v2, s14, v3, v1
	ds_write2_b32 v11, v0, v2 offset0:2 offset1:3
	v_bfi_b32 v0, s14, v1, v3
	ds_write2_b32 v11, v0, v14 offset0:4 offset1:5
	ds_write_b32 v11, v21 offset:24
.LBB0_7:
	s_or_b64 exec, exec, s[4:5]
	v_mov_b32_e32 v0, 37
	v_mul_lo_u16_sdwa v0, v20, v0 dst_sel:DWORD dst_unused:UNUSED_PAD src0_sel:BYTE_0 src1_sel:DWORD
	v_sub_u16_sdwa v1, v20, v0 dst_sel:DWORD dst_unused:UNUSED_PAD src0_sel:DWORD src1_sel:BYTE_1
	v_lshrrev_b16_e32 v1, 1, v1
	v_and_b32_e32 v1, 0x7f, v1
	v_add_u16_sdwa v0, v1, v0 dst_sel:DWORD dst_unused:UNUSED_PAD src0_sel:DWORD src1_sel:BYTE_1
	v_lshrrev_b16_e32 v8, 2, v0
	v_mul_lo_u16_e32 v0, 7, v8
	v_sub_u16_e32 v0, v20, v0
	v_and_b32_e32 v9, 0xff, v0
	v_lshlrev_b32_e32 v0, 4, v9
	s_load_dwordx4 s[8:11], s[2:3], 0x0
	s_waitcnt lgkmcnt(0)
	s_barrier
	global_load_dwordx4 v[0:3], v0, s[0:1]
	v_add_u32_e32 v25, 0x500, v19
	ds_read_b32 v10, v19 offset:2800
	ds_read2_b32 v[4:5], v19 offset1:175
	ds_read2_b32 v[6:7], v25 offset0:30 offset1:205
	s_movk_i32 s3, 0x3b9c
	s_mov_b32 s5, 0xbb9c
	s_waitcnt lgkmcnt(2)
	v_lshrrev_b32_e32 v11, 16, v10
	s_waitcnt lgkmcnt(1)
	v_lshrrev_b32_e32 v13, 16, v5
	s_waitcnt lgkmcnt(0)
	v_lshrrev_b32_e32 v16, 16, v6
	v_lshrrev_b32_e32 v17, 16, v7
	v_lshrrev_b32_e32 v15, 16, v4
	s_movk_i32 s2, 0x38b4
	s_mov_b32 s15, 0xb8b4
	s_movk_i32 s4, 0x34f2
	v_mul_u32_u24_e32 v8, 35, v8
	s_waitcnt vmcnt(0)
	s_barrier
	s_movk_i32 s16, 0xeb
	v_mul_f16_sdwa v18, v16, v1 dst_sel:DWORD dst_unused:UNUSED_PAD src0_sel:DWORD src1_sel:WORD_1
	v_mul_f16_sdwa v23, v6, v1 dst_sel:DWORD dst_unused:UNUSED_PAD src0_sel:DWORD src1_sel:WORD_1
	;; [unrolled: 1-line block ×8, first 2 shown]
	v_fma_f16 v6, v6, v1, -v18
	v_fma_f16 v7, v7, v2, -v24
	v_fma_f16 v16, v16, v1, v23
	v_fma_f16 v17, v17, v2, v26
	;; [unrolled: 1-line block ×3, first 2 shown]
	v_fma_f16 v5, v5, v0, -v30
	v_fma_f16 v10, v10, v3, -v27
	v_fma_f16 v11, v11, v3, v28
	v_add_f16_e32 v18, v6, v7
	v_add_f16_e32 v24, v4, v5
	;; [unrolled: 1-line block ×5, first 2 shown]
	v_sub_f16_e32 v26, v5, v6
	v_sub_f16_e32 v27, v10, v7
	;; [unrolled: 1-line block ×7, first 2 shown]
	v_add_f16_e32 v36, v13, v11
	v_sub_f16_e32 v38, v16, v17
	v_sub_f16_e32 v5, v5, v10
	;; [unrolled: 1-line block ×3, first 2 shown]
	v_fma_f16 v18, v18, -0.5, v4
	v_add_f16_e32 v6, v24, v6
	v_fma_f16 v24, v35, -0.5, v15
	v_add_f16_e32 v16, v37, v16
	v_sub_f16_e32 v31, v11, v17
	v_fma_f16 v4, v23, -0.5, v4
	v_add_f16_e32 v23, v26, v27
	v_add_f16_e32 v26, v28, v29
	v_fma_f16 v15, v36, -0.5, v15
	v_add_f16_e32 v6, v6, v7
	v_add_f16_e32 v7, v16, v17
	v_fma_f16 v16, v13, s3, v18
	v_fma_f16 v29, v5, s5, v24
	v_sub_f16_e32 v33, v17, v11
	v_add_f16_e32 v27, v30, v31
	v_fma_f16 v17, v13, s5, v18
	v_fma_f16 v18, v38, s5, v4
	;; [unrolled: 1-line block ×5, first 2 shown]
	v_add_f16_e32 v6, v6, v10
	v_fma_f16 v10, v38, s2, v16
	v_add_f16_e32 v7, v7, v11
	v_fma_f16 v11, v34, s15, v29
	;; [unrolled: 2-line block ×3, first 2 shown]
	v_fma_f16 v16, v38, s15, v17
	v_fma_f16 v17, v13, s2, v18
	;; [unrolled: 1-line block ×13, first 2 shown]
	v_add_lshl_u32 v23, v8, v9, 2
	v_pack_b32_f16 v6, v6, v7
	v_pack_b32_f16 v7, v10, v11
	v_fma_f16 v13, v27, s4, v13
	ds_write2_b32 v23, v6, v7 offset1:7
	v_pack_b32_f16 v6, v17, v15
	v_pack_b32_f16 v4, v4, v5
	ds_write2_b32 v23, v6, v4 offset0:14 offset1:21
	v_pack_b32_f16 v4, v16, v13
	ds_write_b32 v23, v4 offset:112
	v_mul_lo_u16_sdwa v4, v20, s16 dst_sel:DWORD dst_unused:UNUSED_PAD src0_sel:BYTE_0 src1_sel:DWORD
	v_lshrrev_b16_e32 v8, 13, v4
	v_mul_lo_u16_e32 v4, 35, v8
	v_sub_u16_e32 v4, v20, v4
	v_and_b32_e32 v9, 0xff, v4
	v_lshlrev_b32_e32 v4, 4, v9
	s_waitcnt lgkmcnt(0)
	s_barrier
	global_load_dwordx4 v[4:7], v4, s[0:1] offset:112
	v_mul_u32_u24_e32 v8, 0xaf, v8
	v_add_lshl_u32 v24, v8, v9, 2
	ds_read2_b32 v[8:9], v25 offset0:30 offset1:205
	ds_read_b32 v13, v19 offset:2800
	ds_read2_b32 v[10:11], v19 offset1:175
	s_waitcnt vmcnt(0) lgkmcnt(0)
	s_barrier
	v_lshrrev_b32_e32 v15, 16, v8
	v_lshrrev_b32_e32 v16, 16, v9
	v_lshrrev_b32_e32 v18, 16, v11
	v_lshrrev_b32_e32 v17, 16, v13
	v_lshrrev_b32_e32 v26, 16, v10
	v_mul_f16_sdwa v34, v18, v4 dst_sel:DWORD dst_unused:UNUSED_PAD src0_sel:DWORD src1_sel:WORD_1
	v_mul_f16_sdwa v27, v15, v5 dst_sel:DWORD dst_unused:UNUSED_PAD src0_sel:DWORD src1_sel:WORD_1
	;; [unrolled: 1-line block ×6, first 2 shown]
	v_fma_f16 v11, v11, v4, -v34
	v_mul_f16_sdwa v30, v9, v6 dst_sel:DWORD dst_unused:UNUSED_PAD src0_sel:DWORD src1_sel:WORD_1
	v_mul_f16_sdwa v32, v13, v7 dst_sel:DWORD dst_unused:UNUSED_PAD src0_sel:DWORD src1_sel:WORD_1
	v_fma_f16 v8, v8, v5, -v27
	v_fma_f16 v9, v9, v6, -v28
	v_fma_f16 v15, v15, v5, v29
	v_fma_f16 v13, v13, v7, -v31
	v_add_f16_e32 v29, v10, v11
	v_fma_f16 v16, v16, v6, v30
	v_fma_f16 v17, v17, v7, v32
	v_fma_f16 v18, v18, v4, v33
	v_add_f16_e32 v27, v8, v9
	v_add_f16_e32 v28, v11, v13
	;; [unrolled: 1-line block ×3, first 2 shown]
	v_sub_f16_e32 v30, v11, v8
	v_sub_f16_e32 v31, v13, v9
	v_add_f16_e32 v34, v26, v18
	v_sub_f16_e32 v37, v15, v16
	v_sub_f16_e32 v38, v11, v13
	;; [unrolled: 1-line block ×3, first 2 shown]
	v_fma_f16 v27, v27, -0.5, v10
	v_fma_f16 v10, v28, -0.5, v10
	v_add_f16_e32 v29, v29, v9
	v_sub_f16_e32 v8, v8, v11
	v_sub_f16_e32 v9, v9, v13
	v_add_f16_e32 v11, v18, v17
	v_sub_f16_e32 v32, v18, v15
	v_sub_f16_e32 v33, v17, v16
	v_add_f16_e32 v35, v15, v16
	v_sub_f16_e32 v36, v18, v17
	v_add_f16_e32 v28, v30, v31
	v_add_f16_e32 v31, v34, v15
	;; [unrolled: 1-line block ×4, first 2 shown]
	v_fma_f16 v9, v37, s5, v10
	v_fma_f16 v10, v37, s3, v10
	v_fma_f16 v11, v11, -0.5, v26
	v_sub_f16_e32 v13, v15, v18
	v_sub_f16_e32 v15, v16, v17
	v_add_f16_e32 v30, v32, v33
	v_fma_f16 v32, v35, -0.5, v26
	v_fma_f16 v9, v36, s2, v9
	v_fma_f16 v10, v36, s15, v10
	v_add_f16_e32 v13, v13, v15
	v_fma_f16 v15, v39, s3, v11
	v_fma_f16 v11, v39, s5, v11
	v_fma_f16 v33, v36, s3, v27
	v_fma_f16 v27, v36, s5, v27
	v_fma_f16 v9, v8, s4, v9
	v_fma_f16 v8, v8, s4, v10
	v_fma_f16 v10, v38, s3, v32
	v_fma_f16 v15, v38, s15, v15
	v_fma_f16 v11, v38, s2, v11
	v_add_f16_e32 v31, v31, v16
	v_fma_f16 v34, v38, s5, v32
	v_fma_f16 v27, v37, s15, v27
	v_fma_f16 v10, v39, s2, v10
	v_fma_f16 v15, v13, s4, v15
	v_fma_f16 v11, v13, s4, v11
	v_add_f16_e32 v31, v31, v17
	v_fma_f16 v33, v37, s2, v33
	v_fma_f16 v34, v39, s15, v34
	;; [unrolled: 1-line block ×4, first 2 shown]
	v_pack_b32_f16 v9, v9, v15
	v_pack_b32_f16 v8, v8, v11
	;; [unrolled: 1-line block ×3, first 2 shown]
	v_fma_f16 v31, v28, s4, v33
	v_fma_f16 v33, v30, s4, v34
	ds_write2_b32 v24, v9, v8 offset0:70 offset1:105
	v_pack_b32_f16 v8, v27, v10
	v_pack_b32_f16 v31, v31, v33
	ds_write_b32 v24, v8 offset:560
	v_lshlrev_b32_e32 v8, 4, v20
	ds_write2_b32 v24, v29, v31 offset1:35
	s_waitcnt lgkmcnt(0)
	s_barrier
	global_load_dwordx4 v[8:11], v8, s[0:1] offset:672
	ds_read2_b32 v[15:16], v25 offset0:30 offset1:205
	ds_read_b32 v13, v19 offset:2800
	ds_read2_b32 v[17:18], v19 offset1:175
	s_waitcnt vmcnt(0) lgkmcnt(2)
	v_pk_mul_f16 v26, v15, v9 op_sel:[0,1]
	v_pk_mul_f16 v27, v16, v10 op_sel:[0,1]
	s_waitcnt lgkmcnt(1)
	v_pk_mul_f16 v28, v13, v11 op_sel:[0,1]
	s_waitcnt lgkmcnt(0)
	v_pk_mul_f16 v29, v18, v8 op_sel:[0,1]
	v_pk_fma_f16 v30, v15, v9, v26 op_sel:[0,0,1] op_sel_hi:[1,1,0] neg_lo:[0,0,1] neg_hi:[0,0,1]
	v_pk_fma_f16 v15, v15, v9, v26 op_sel:[0,0,1] op_sel_hi:[1,0,0]
	v_pk_fma_f16 v26, v16, v10, v27 op_sel:[0,0,1] op_sel_hi:[1,1,0] neg_lo:[0,0,1] neg_hi:[0,0,1]
	v_pk_fma_f16 v16, v16, v10, v27 op_sel:[0,0,1] op_sel_hi:[1,0,0]
	;; [unrolled: 2-line block ×4, first 2 shown]
	v_bfi_b32 v18, s14, v28, v18
	v_bfi_b32 v15, s14, v30, v15
	;; [unrolled: 1-line block ×4, first 2 shown]
	v_pk_add_f16 v26, v15, v16
	v_pk_add_f16 v27, v18, v13
	;; [unrolled: 1-line block ×3, first 2 shown]
	v_pk_add_f16 v29, v18, v15 neg_lo:[0,1] neg_hi:[0,1]
	v_pk_add_f16 v31, v18, v13 neg_lo:[0,1] neg_hi:[0,1]
	;; [unrolled: 1-line block ×4, first 2 shown]
	v_pk_fma_f16 v26, v26, 0.5, v17 op_sel_hi:[1,0,1] neg_lo:[1,0,0] neg_hi:[1,0,0]
	v_pk_fma_f16 v17, v27, 0.5, v17 op_sel_hi:[1,0,1] neg_lo:[1,0,0] neg_hi:[1,0,0]
	v_pk_add_f16 v15, v28, v15
	v_pk_add_f16 v30, v13, v16 neg_lo:[0,1] neg_hi:[0,1]
	v_pk_add_f16 v33, v16, v13 neg_lo:[0,1] neg_hi:[0,1]
	v_pk_fma_f16 v28, v31, s3, v26 op_sel:[1,0,0] op_sel_hi:[0,0,1]
	v_pk_fma_f16 v26, v31, s3, v26 op_sel:[1,0,0] op_sel_hi:[0,0,1] neg_lo:[1,0,0] neg_hi:[1,0,0]
	v_pk_add_f16 v15, v15, v16
	v_pk_fma_f16 v16, v32, s3, v17 op_sel:[1,0,0] op_sel_hi:[0,0,1] neg_lo:[1,0,0] neg_hi:[1,0,0]
	v_pk_fma_f16 v17, v32, s3, v17 op_sel:[1,0,0] op_sel_hi:[0,0,1]
	v_pk_fma_f16 v28, v32, s2, v28 op_sel:[1,0,0] op_sel_hi:[0,0,1]
	v_pk_fma_f16 v26, v32, s2, v26 op_sel:[1,0,0] op_sel_hi:[0,0,1] neg_lo:[1,0,0] neg_hi:[1,0,0]
	v_pk_add_f16 v15, v15, v13
	v_pk_fma_f16 v13, v31, s2, v16 op_sel:[1,0,0] op_sel_hi:[0,0,1]
	v_pk_fma_f16 v16, v31, s2, v17 op_sel:[1,0,0] op_sel_hi:[0,0,1] neg_lo:[1,0,0] neg_hi:[1,0,0]
	v_pk_add_f16 v27, v29, v30
	v_pk_add_f16 v18, v18, v33
	v_bfi_b32 v17, s14, v28, v26
	v_bfi_b32 v26, s14, v26, v28
	;; [unrolled: 1-line block ×4, first 2 shown]
	v_pk_fma_f16 v13, v27, s4, v26 op_sel_hi:[1,0,1]
	v_pk_fma_f16 v16, v27, s4, v17 op_sel_hi:[1,0,1]
	;; [unrolled: 1-line block ×4, first 2 shown]
	ds_write2_b32 v25, v17, v18 offset0:30 offset1:205
	ds_write2_b32 v19, v15, v16 offset1:175
	ds_write_b32 v19, v13 offset:2800
	s_waitcnt lgkmcnt(0)
	s_barrier
	s_and_saveexec_b64 s[0:1], vcc
	s_cbranch_execz .LBB0_9
; %bb.8:
	global_load_dword v25, v19, s[12:13] offset:3500
	s_add_u32 s2, s12, 0xdac
	s_addc_u32 s3, s13, 0
	global_load_dword v31, v19, s[2:3] offset:500
	global_load_dword v32, v19, s[2:3] offset:1000
	global_load_dword v33, v19, s[2:3] offset:1500
	global_load_dword v34, v19, s[2:3] offset:2000
	global_load_dword v35, v19, s[2:3] offset:2500
	global_load_dword v36, v19, s[2:3] offset:3000
	ds_read_b32 v26, v19
	v_add_u32_e32 v37, 0x400, v19
	v_add_u32_e32 v38, 0x800, v19
	s_waitcnt lgkmcnt(0)
	v_lshrrev_b32_e32 v27, 16, v26
	s_waitcnt vmcnt(6)
	v_mul_f16_sdwa v28, v27, v25 dst_sel:DWORD dst_unused:UNUSED_PAD src0_sel:DWORD src1_sel:WORD_1
	v_mul_f16_sdwa v29, v26, v25 dst_sel:DWORD dst_unused:UNUSED_PAD src0_sel:DWORD src1_sel:WORD_1
	v_fma_f16 v26, v26, v25, -v28
	v_fma_f16 v25, v27, v25, v29
	v_pack_b32_f16 v25, v26, v25
	ds_write_b32 v19, v25
	ds_read2_b32 v[25:26], v19 offset0:125 offset1:250
	ds_read2_b32 v[27:28], v37 offset0:119 offset1:244
	;; [unrolled: 1-line block ×3, first 2 shown]
	s_waitcnt lgkmcnt(1)
	v_lshrrev_b32_e32 v43, 16, v27
	v_lshrrev_b32_e32 v39, 16, v25
	s_waitcnt vmcnt(5)
	v_mul_f16_sdwa v40, v25, v31 dst_sel:DWORD dst_unused:UNUSED_PAD src0_sel:DWORD src1_sel:WORD_1
	v_lshrrev_b32_e32 v41, 16, v26
	s_waitcnt vmcnt(4)
	v_mul_f16_sdwa v42, v26, v32 dst_sel:DWORD dst_unused:UNUSED_PAD src0_sel:DWORD src1_sel:WORD_1
	s_waitcnt vmcnt(3)
	v_mul_f16_sdwa v44, v27, v33 dst_sel:DWORD dst_unused:UNUSED_PAD src0_sel:DWORD src1_sel:WORD_1
	v_lshrrev_b32_e32 v45, 16, v28
	s_waitcnt vmcnt(2)
	v_mul_f16_sdwa v46, v28, v34 dst_sel:DWORD dst_unused:UNUSED_PAD src0_sel:DWORD src1_sel:WORD_1
	s_waitcnt lgkmcnt(0)
	v_lshrrev_b32_e32 v47, 16, v29
	s_waitcnt vmcnt(1)
	v_mul_f16_sdwa v48, v29, v35 dst_sel:DWORD dst_unused:UNUSED_PAD src0_sel:DWORD src1_sel:WORD_1
	v_lshrrev_b32_e32 v49, 16, v30
	v_mul_f16_sdwa v51, v39, v31 dst_sel:DWORD dst_unused:UNUSED_PAD src0_sel:DWORD src1_sel:WORD_1
	v_fma_f16 v39, v39, v31, v40
	v_mul_f16_sdwa v40, v41, v32 dst_sel:DWORD dst_unused:UNUSED_PAD src0_sel:DWORD src1_sel:WORD_1
	s_waitcnt vmcnt(0)
	v_mul_f16_sdwa v50, v30, v36 dst_sel:DWORD dst_unused:UNUSED_PAD src0_sel:DWORD src1_sel:WORD_1
	v_fma_f16 v41, v41, v32, v42
	v_mul_f16_sdwa v42, v43, v33 dst_sel:DWORD dst_unused:UNUSED_PAD src0_sel:DWORD src1_sel:WORD_1
	v_fma_f16 v43, v43, v33, v44
	;; [unrolled: 2-line block ×4, first 2 shown]
	v_mul_f16_sdwa v48, v49, v36 dst_sel:DWORD dst_unused:UNUSED_PAD src0_sel:DWORD src1_sel:WORD_1
	v_fma_f16 v25, v25, v31, -v51
	v_fma_f16 v26, v26, v32, -v40
	v_fma_f16 v49, v49, v36, v50
	v_fma_f16 v27, v27, v33, -v42
	v_fma_f16 v28, v28, v34, -v44
	;; [unrolled: 1-line block ×4, first 2 shown]
	v_pack_b32_f16 v25, v25, v39
	v_pack_b32_f16 v26, v26, v41
	;; [unrolled: 1-line block ×6, first 2 shown]
	ds_write2_b32 v19, v25, v26 offset0:125 offset1:250
	ds_write2_b32 v37, v27, v28 offset0:119 offset1:244
	;; [unrolled: 1-line block ×3, first 2 shown]
.LBB0_9:
	s_or_b64 exec, exec, s[0:1]
	s_waitcnt lgkmcnt(0)
	s_barrier
	s_and_saveexec_b64 s[0:1], vcc
	s_cbranch_execz .LBB0_11
; %bb.10:
	v_add_u32_e32 v13, 0x200, v19
	ds_read2_b32 v[17:18], v13 offset0:122 offset1:247
	v_add_u32_e32 v13, 0x600, v19
	ds_read2_b32 v[15:16], v19 offset1:125
	ds_read2_b32 v[13:14], v13 offset0:116 offset1:241
	ds_read_b32 v21, v19 offset:3000
.LBB0_11:
	s_or_b64 exec, exec, s[0:1]
	s_waitcnt lgkmcnt(0)
	s_barrier
	s_and_saveexec_b64 s[0:1], vcc
	s_cbranch_execz .LBB0_13
; %bb.12:
	v_pk_add_f16 v25, v21, v16
	v_pk_add_f16 v27, v14, v17
	;; [unrolled: 1-line block ×4, first 2 shown]
	s_mov_b32 s2, 0xffff
	v_pk_add_f16 v28, v26, v28
	v_bfi_b32 v29, s2, v25, v26
	v_bfi_b32 v30, s2, v26, v27
	;; [unrolled: 1-line block ×4, first 2 shown]
	v_pk_add_f16 v16, v16, v21 neg_lo:[0,1] neg_hi:[0,1]
	v_pk_add_f16 v13, v13, v18 neg_lo:[0,1] neg_hi:[0,1]
	;; [unrolled: 1-line block ×4, first 2 shown]
	s_mov_b32 s4, 0x3a522b26
	v_alignbit_b32 v21, v16, v13, 16
	v_alignbit_b32 v31, v13, v14, 16
	v_pk_add_f16 v29, v29, v30 neg_lo:[0,1] neg_hi:[0,1]
	s_mov_b32 s3, 0x2b263a52
	v_pk_mul_f16 v26, v26, s4
	v_alignbit_b32 v17, v13, v16, 16
	v_alignbit_b32 v18, v14, v13, 16
	v_pk_add_f16 v21, v21, v31 neg_lo:[0,1] neg_hi:[0,1]
	s_mov_b32 s4, 0xb5743846
	v_pk_mul_f16 v30, v29, s3
	v_pk_fma_f16 v29, v29, s3, v26
	v_pk_add_f16 v17, v17, v18 neg_lo:[0,1] neg_hi:[0,1]
	s_mov_b32 s3, 0x3846b574
	v_pk_mul_f16 v21, v21, s4
	v_pk_add_f16 v13, v13, v14
	v_pk_add_f16 v15, v15, v28
	v_pk_mul_f16 v18, v17, s3
	v_pk_fma_f16 v17, v17, s3, v21
	v_pk_add_f16 v13, v13, v16
	s_mov_b32 s3, 0xb70e
	s_mov_b32 s4, 0xbcab
	v_pk_mul_f16 v31, v13, s3 op_sel_hi:[1,0]
	v_pk_fma_f16 v28, v28, s4, v15 op_sel_hi:[1,0,1]
	v_pk_add_f16 v17, v31, v17 op_sel:[1,0] op_sel_hi:[0,1]
	v_pk_add_f16 v29, v29, v28
	v_pk_add_f16 v31, v29, v17
	v_pk_add_f16 v17, v29, v17 neg_lo:[0,1] neg_hi:[0,1]
	v_pk_add_f16 v14, v14, v16 neg_lo:[0,1] neg_hi:[0,1]
	v_alignbit_b32 v16, v18, v21, 16
	s_mov_b32 s5, 0xbb00
	v_alignbit_b32 v18, v21, v18, 16
	v_lshlrev_b32_e32 v22, 2, v22
	v_bfi_b32 v29, s2, v31, v17
	v_pk_fma_f16 v16, v14, s5, v16 op_sel_hi:[1,0,1] neg_lo:[1,0,1] neg_hi:[1,0,1]
	v_pk_fma_f16 v14, v14, s5, v18 op_sel_hi:[1,0,1] neg_lo:[0,0,1] neg_hi:[0,0,1]
	ds_write2_b32 v22, v15, v29 offset1:1
	v_pk_add_f16 v15, v27, v25 neg_lo:[0,1] neg_hi:[0,1]
	v_bfi_b32 v25, s2, v30, v26
	s_movk_i32 s4, 0x39e0
	v_pk_fma_f16 v16, v13, s3, v16 op_sel_hi:[1,0,1]
	v_pk_fma_f16 v13, v13, s3, v14 op_sel_hi:[1,0,1]
	v_bfi_b32 v14, s2, v26, v30
	v_pk_fma_f16 v25, v15, s4, v25 op_sel_hi:[1,0,1] neg_lo:[1,0,1] neg_hi:[1,0,1]
	v_pk_fma_f16 v14, v15, s4, v14 op_sel_hi:[1,0,1] neg_lo:[0,0,1] neg_hi:[0,0,1]
	v_pk_add_f16 v25, v25, v28
	v_pk_add_f16 v14, v14, v28
	v_pk_add_f16 v27, v25, v16 op_sel:[0,1] op_sel_hi:[1,0]
	v_pk_add_f16 v16, v25, v16 op_sel:[0,1] op_sel_hi:[1,0] neg_lo:[0,1] neg_hi:[0,1]
	v_pk_add_f16 v15, v14, v13 op_sel:[0,1] op_sel_hi:[1,0] neg_lo:[0,1] neg_hi:[0,1]
	v_pk_add_f16 v13, v14, v13 op_sel:[0,1] op_sel_hi:[1,0]
	v_bfi_b32 v25, s2, v27, v16
	v_bfi_b32 v14, s2, v15, v13
	ds_write2_b32 v22, v25, v14 offset0:2 offset1:3
	v_bfi_b32 v13, s2, v13, v15
	v_bfi_b32 v14, s2, v16, v27
	ds_write2_b32 v22, v13, v14 offset0:4 offset1:5
	v_bfi_b32 v13, s2, v17, v31
	ds_write_b32 v22, v13 offset:24
.LBB0_13:
	s_or_b64 exec, exec, s[0:1]
	s_waitcnt lgkmcnt(0)
	s_barrier
	ds_read2_b32 v[13:14], v19 offset1:175
	v_add_u32_e32 v17, 0x500, v19
	ds_read2_b32 v[15:16], v17 offset0:30 offset1:205
	ds_read_b32 v18, v19 offset:2800
	s_mov_b32 s1, 0xbb9c
	s_movk_i32 s3, 0x3b9c
	s_waitcnt lgkmcnt(2)
	v_lshrrev_b32_e32 v22, 16, v14
	v_mul_f16_sdwa v28, v0, v22 dst_sel:DWORD dst_unused:UNUSED_PAD src0_sel:WORD_1 src1_sel:DWORD
	s_waitcnt lgkmcnt(1)
	v_lshrrev_b32_e32 v25, 16, v15
	v_fma_f16 v28, v0, v14, v28
	v_mul_f16_sdwa v14, v0, v14 dst_sel:DWORD dst_unused:UNUSED_PAD src0_sel:WORD_1 src1_sel:DWORD
	v_fma_f16 v0, v0, v22, -v14
	v_mul_f16_sdwa v14, v1, v25 dst_sel:DWORD dst_unused:UNUSED_PAD src0_sel:WORD_1 src1_sel:DWORD
	v_lshrrev_b32_e32 v26, 16, v16
	v_fma_f16 v14, v1, v15, v14
	v_mul_f16_sdwa v15, v1, v15 dst_sel:DWORD dst_unused:UNUSED_PAD src0_sel:WORD_1 src1_sel:DWORD
	v_fma_f16 v1, v1, v25, -v15
	v_mul_f16_sdwa v15, v2, v26 dst_sel:DWORD dst_unused:UNUSED_PAD src0_sel:WORD_1 src1_sel:DWORD
	s_waitcnt lgkmcnt(0)
	v_lshrrev_b32_e32 v27, 16, v18
	v_fma_f16 v15, v2, v16, v15
	v_mul_f16_sdwa v16, v2, v16 dst_sel:DWORD dst_unused:UNUSED_PAD src0_sel:WORD_1 src1_sel:DWORD
	v_fma_f16 v2, v2, v26, -v16
	v_mul_f16_sdwa v16, v3, v27 dst_sel:DWORD dst_unused:UNUSED_PAD src0_sel:WORD_1 src1_sel:DWORD
	v_fma_f16 v16, v3, v18, v16
	v_mul_f16_sdwa v18, v3, v18 dst_sel:DWORD dst_unused:UNUSED_PAD src0_sel:WORD_1 src1_sel:DWORD
	v_fma_f16 v3, v3, v27, -v18
	v_add_f16_e32 v22, v14, v15
	v_fma_f16 v22, v22, -0.5, v13
	v_sub_f16_e32 v25, v0, v3
	v_fma_f16 v26, v25, s1, v22
	v_sub_f16_e32 v27, v1, v2
	s_mov_b32 s0, 0xb8b4
	v_sub_f16_e32 v29, v28, v14
	v_sub_f16_e32 v30, v16, v15
	v_fma_f16 v22, v25, s3, v22
	s_movk_i32 s4, 0x38b4
	v_fma_f16 v26, v27, s0, v26
	v_add_f16_e32 v29, v29, v30
	s_movk_i32 s2, 0x34f2
	v_fma_f16 v22, v27, s4, v22
	v_add_f16_e32 v18, v13, v28
	v_fma_f16 v26, v29, s2, v26
	v_fma_f16 v22, v29, s2, v22
	v_add_f16_e32 v29, v28, v16
	v_lshrrev_b32_e32 v21, 16, v13
	v_add_f16_e32 v18, v18, v14
	v_fma_f16 v13, v29, -0.5, v13
	v_add_f16_e32 v18, v18, v15
	v_fma_f16 v29, v27, s3, v13
	v_fma_f16 v13, v27, s1, v13
	v_add_f16_e32 v27, v1, v2
	v_add_f16_e32 v18, v18, v16
	v_sub_f16_e32 v30, v14, v28
	v_sub_f16_e32 v31, v15, v16
	v_fma_f16 v27, v27, -0.5, v21
	v_sub_f16_e32 v16, v28, v16
	v_fma_f16 v29, v25, s0, v29
	v_add_f16_e32 v30, v30, v31
	v_fma_f16 v13, v25, s4, v13
	v_fma_f16 v28, v16, s3, v27
	v_sub_f16_e32 v14, v14, v15
	v_fma_f16 v29, v30, s2, v29
	v_fma_f16 v13, v30, s2, v13
	;; [unrolled: 1-line block ×3, first 2 shown]
	v_sub_f16_e32 v28, v0, v1
	v_sub_f16_e32 v30, v3, v2
	v_fma_f16 v27, v16, s1, v27
	v_add_f16_e32 v28, v28, v30
	v_fma_f16 v27, v14, s0, v27
	v_add_f16_e32 v25, v21, v0
	v_fma_f16 v15, v28, s2, v15
	v_fma_f16 v27, v28, s2, v27
	v_add_f16_e32 v28, v0, v3
	v_add_f16_e32 v25, v25, v1
	v_fma_f16 v21, v28, -0.5, v21
	v_add_f16_e32 v25, v25, v2
	v_fma_f16 v28, v14, s1, v21
	v_sub_f16_e32 v0, v1, v0
	v_sub_f16_e32 v1, v2, v3
	v_fma_f16 v2, v14, s3, v21
	v_fma_f16 v28, v16, s4, v28
	v_add_f16_e32 v0, v0, v1
	v_fma_f16 v2, v16, s0, v2
	v_fma_f16 v1, v0, s2, v28
	v_fma_f16 v0, v0, s2, v2
	v_add_f16_e32 v25, v25, v3
	v_pack_b32_f16 v1, v29, v1
	v_pack_b32_f16 v0, v13, v0
	s_barrier
	v_pack_b32_f16 v2, v18, v25
	v_pack_b32_f16 v3, v26, v15
	ds_write2_b32 v23, v1, v0 offset0:14 offset1:21
	v_pack_b32_f16 v0, v22, v27
	ds_write2_b32 v23, v2, v3 offset1:7
	ds_write_b32 v23, v0 offset:112
	s_waitcnt lgkmcnt(0)
	s_barrier
	ds_read2_b32 v[0:1], v19 offset1:175
	ds_read2_b32 v[2:3], v17 offset0:30 offset1:205
	ds_read_b32 v13, v19 offset:2800
	s_waitcnt lgkmcnt(0)
	s_barrier
	v_lshrrev_b32_e32 v15, 16, v1
	v_mul_f16_sdwa v22, v4, v15 dst_sel:DWORD dst_unused:UNUSED_PAD src0_sel:WORD_1 src1_sel:DWORD
	v_lshrrev_b32_e32 v16, 16, v2
	v_fma_f16 v22, v4, v1, v22
	v_mul_f16_sdwa v1, v4, v1 dst_sel:DWORD dst_unused:UNUSED_PAD src0_sel:WORD_1 src1_sel:DWORD
	v_fma_f16 v1, v4, v15, -v1
	v_mul_f16_sdwa v4, v5, v16 dst_sel:DWORD dst_unused:UNUSED_PAD src0_sel:WORD_1 src1_sel:DWORD
	v_lshrrev_b32_e32 v18, 16, v3
	v_fma_f16 v4, v5, v2, v4
	v_mul_f16_sdwa v2, v5, v2 dst_sel:DWORD dst_unused:UNUSED_PAD src0_sel:WORD_1 src1_sel:DWORD
	v_fma_f16 v2, v5, v16, -v2
	;; [unrolled: 5-line block ×3, first 2 shown]
	v_mul_f16_sdwa v6, v7, v21 dst_sel:DWORD dst_unused:UNUSED_PAD src0_sel:WORD_1 src1_sel:DWORD
	v_fma_f16 v6, v7, v13, v6
	v_mul_f16_sdwa v13, v7, v13 dst_sel:DWORD dst_unused:UNUSED_PAD src0_sel:WORD_1 src1_sel:DWORD
	v_fma_f16 v7, v7, v21, -v13
	v_add_f16_e32 v15, v4, v5
	v_fma_f16 v15, v15, -0.5, v0
	v_sub_f16_e32 v16, v1, v7
	v_fma_f16 v18, v16, s1, v15
	v_sub_f16_e32 v21, v2, v3
	v_sub_f16_e32 v23, v22, v4
	;; [unrolled: 1-line block ×3, first 2 shown]
	v_fma_f16 v15, v16, s3, v15
	v_fma_f16 v18, v21, s0, v18
	v_add_f16_e32 v23, v23, v25
	v_fma_f16 v15, v21, s4, v15
	v_add_f16_e32 v13, v0, v22
	v_fma_f16 v18, v23, s2, v18
	v_fma_f16 v15, v23, s2, v15
	v_add_f16_e32 v23, v22, v6
	v_lshrrev_b32_e32 v14, 16, v0
	v_add_f16_e32 v13, v13, v4
	v_fma_f16 v0, v23, -0.5, v0
	v_add_f16_e32 v13, v13, v5
	v_fma_f16 v23, v21, s3, v0
	v_fma_f16 v0, v21, s1, v0
	v_add_f16_e32 v21, v2, v3
	v_add_f16_e32 v13, v13, v6
	v_sub_f16_e32 v25, v4, v22
	v_sub_f16_e32 v26, v5, v6
	v_fma_f16 v21, v21, -0.5, v14
	v_sub_f16_e32 v6, v22, v6
	v_fma_f16 v23, v16, s0, v23
	v_add_f16_e32 v25, v25, v26
	v_fma_f16 v0, v16, s4, v0
	v_fma_f16 v22, v6, s3, v21
	v_sub_f16_e32 v4, v4, v5
	v_fma_f16 v23, v25, s2, v23
	v_fma_f16 v0, v25, s2, v0
	;; [unrolled: 1-line block ×3, first 2 shown]
	v_sub_f16_e32 v22, v1, v2
	v_sub_f16_e32 v25, v7, v3
	v_fma_f16 v21, v6, s1, v21
	v_add_f16_e32 v22, v22, v25
	v_fma_f16 v21, v4, s0, v21
	v_add_f16_e32 v16, v14, v1
	v_fma_f16 v5, v22, s2, v5
	v_fma_f16 v21, v22, s2, v21
	v_add_f16_e32 v22, v1, v7
	v_add_f16_e32 v16, v16, v2
	v_fma_f16 v14, v22, -0.5, v14
	v_add_f16_e32 v16, v16, v3
	v_fma_f16 v22, v4, s1, v14
	v_sub_f16_e32 v1, v2, v1
	v_sub_f16_e32 v2, v3, v7
	v_fma_f16 v3, v4, s3, v14
	v_fma_f16 v22, v6, s4, v22
	v_add_f16_e32 v1, v1, v2
	v_fma_f16 v3, v6, s0, v3
	v_fma_f16 v2, v1, s2, v22
	;; [unrolled: 1-line block ×3, first 2 shown]
	v_add_f16_e32 v16, v16, v7
	v_pack_b32_f16 v2, v23, v2
	v_pack_b32_f16 v0, v0, v1
	;; [unrolled: 1-line block ×4, first 2 shown]
	ds_write2_b32 v24, v2, v0 offset0:70 offset1:105
	v_pack_b32_f16 v0, v15, v21
	ds_write2_b32 v24, v3, v4 offset1:35
	ds_write_b32 v24, v0 offset:560
	s_waitcnt lgkmcnt(0)
	s_barrier
	ds_read2_b32 v[0:1], v19 offset1:175
	ds_read2_b32 v[2:3], v17 offset0:30 offset1:205
	ds_read_b32 v4, v19 offset:2800
	s_waitcnt lgkmcnt(2)
	v_lshrrev_b32_e32 v6, 16, v1
	v_mul_f16_sdwa v15, v8, v6 dst_sel:DWORD dst_unused:UNUSED_PAD src0_sel:WORD_1 src1_sel:DWORD
	s_waitcnt lgkmcnt(1)
	v_lshrrev_b32_e32 v7, 16, v2
	v_fma_f16 v15, v8, v1, v15
	v_mul_f16_sdwa v1, v8, v1 dst_sel:DWORD dst_unused:UNUSED_PAD src0_sel:WORD_1 src1_sel:DWORD
	v_fma_f16 v1, v8, v6, -v1
	v_mul_f16_sdwa v6, v9, v7 dst_sel:DWORD dst_unused:UNUSED_PAD src0_sel:WORD_1 src1_sel:DWORD
	v_lshrrev_b32_e32 v13, 16, v3
	s_waitcnt lgkmcnt(0)
	v_lshrrev_b32_e32 v14, 16, v4
	v_fma_f16 v6, v9, v2, v6
	v_mul_f16_sdwa v2, v9, v2 dst_sel:DWORD dst_unused:UNUSED_PAD src0_sel:WORD_1 src1_sel:DWORD
	v_fma_f16 v2, v9, v7, -v2
	v_mul_f16_sdwa v7, v10, v13 dst_sel:DWORD dst_unused:UNUSED_PAD src0_sel:WORD_1 src1_sel:DWORD
	v_mul_f16_sdwa v8, v11, v14 dst_sel:DWORD dst_unused:UNUSED_PAD src0_sel:WORD_1 src1_sel:DWORD
	v_fma_f16 v7, v10, v3, v7
	v_mul_f16_sdwa v3, v10, v3 dst_sel:DWORD dst_unused:UNUSED_PAD src0_sel:WORD_1 src1_sel:DWORD
	v_fma_f16 v8, v11, v4, v8
	v_mul_f16_sdwa v4, v11, v4 dst_sel:DWORD dst_unused:UNUSED_PAD src0_sel:WORD_1 src1_sel:DWORD
	v_fma_f16 v3, v10, v13, -v3
	v_fma_f16 v4, v11, v14, -v4
	v_add_f16_e32 v10, v6, v7
	v_fma_f16 v10, v10, -0.5, v0
	v_sub_f16_e32 v11, v1, v4
	v_fma_f16 v13, v11, s1, v10
	v_sub_f16_e32 v14, v2, v3
	v_sub_f16_e32 v16, v15, v6
	;; [unrolled: 1-line block ×3, first 2 shown]
	v_fma_f16 v10, v11, s3, v10
	v_fma_f16 v13, v14, s0, v13
	v_add_f16_e32 v16, v16, v18
	v_fma_f16 v10, v14, s4, v10
	v_add_f16_e32 v9, v0, v15
	v_fma_f16 v13, v16, s2, v13
	v_fma_f16 v10, v16, s2, v10
	v_add_f16_e32 v16, v15, v8
	v_lshrrev_b32_e32 v5, 16, v0
	v_add_f16_e32 v9, v9, v6
	v_fma_f16 v0, v16, -0.5, v0
	v_add_f16_e32 v9, v9, v7
	v_fma_f16 v16, v14, s3, v0
	v_fma_f16 v0, v14, s1, v0
	v_add_f16_e32 v14, v2, v3
	v_add_f16_e32 v9, v9, v8
	v_sub_f16_e32 v18, v6, v15
	v_sub_f16_e32 v21, v7, v8
	v_fma_f16 v14, v14, -0.5, v5
	v_sub_f16_e32 v8, v15, v8
	v_fma_f16 v16, v11, s0, v16
	v_add_f16_e32 v18, v18, v21
	v_fma_f16 v0, v11, s4, v0
	v_fma_f16 v15, v8, s3, v14
	v_sub_f16_e32 v6, v6, v7
	v_fma_f16 v16, v18, s2, v16
	v_fma_f16 v0, v18, s2, v0
	;; [unrolled: 1-line block ×3, first 2 shown]
	v_sub_f16_e32 v15, v1, v2
	v_sub_f16_e32 v18, v4, v3
	v_fma_f16 v14, v8, s1, v14
	v_add_f16_e32 v15, v15, v18
	v_fma_f16 v14, v6, s0, v14
	v_add_f16_e32 v11, v5, v1
	v_fma_f16 v7, v15, s2, v7
	v_fma_f16 v14, v15, s2, v14
	v_add_f16_e32 v15, v1, v4
	v_add_f16_e32 v11, v11, v2
	v_fma_f16 v5, v15, -0.5, v5
	v_add_f16_e32 v11, v11, v3
	v_fma_f16 v15, v6, s1, v5
	v_sub_f16_e32 v1, v2, v1
	v_sub_f16_e32 v2, v3, v4
	v_fma_f16 v3, v6, s3, v5
	v_fma_f16 v15, v8, s4, v15
	v_add_f16_e32 v1, v1, v2
	v_fma_f16 v3, v8, s0, v3
	v_fma_f16 v2, v1, s2, v15
	v_fma_f16 v1, v1, s2, v3
	v_add_f16_e32 v11, v11, v4
	v_pack_b32_f16 v2, v16, v2
	v_pack_b32_f16 v0, v0, v1
	;; [unrolled: 1-line block ×4, first 2 shown]
	ds_write2_b32 v17, v2, v0 offset0:30 offset1:205
	v_pack_b32_f16 v0, v10, v14
	ds_write2_b32 v19, v3, v4 offset1:175
	ds_write_b32 v19, v0 offset:2800
	s_waitcnt lgkmcnt(0)
	s_barrier
	s_and_b64 exec, exec, vcc
	s_cbranch_execz .LBB0_15
; %bb.14:
	global_load_dword v6, v19, s[12:13]
	global_load_dword v5, v19, s[12:13] offset:500
	ds_read_b32 v17, v19
	v_mad_u64_u32 v[13:14], s[0:1], s10, v12, 0
	v_mad_u64_u32 v[2:3], s[0:1], s8, v20, 0
	v_mov_b32_e32 v4, 0x7c00
	v_mad_u64_u32 v[14:15], s[0:1], s11, v12, v[14:15]
	s_waitcnt lgkmcnt(0)
	v_lshrrev_b32_e32 v12, 16, v17
	v_mad_u64_u32 v[15:16], s[0:1], s9, v20, v[3:4]
	ds_read2_b32 v[0:1], v19 offset0:125 offset1:250
	s_mov_b32 s14, 0x835d548e
	s_mov_b32 s15, 0x3f52b97d
	global_load_dword v7, v19, s[12:13] offset:1000
	global_load_dword v9, v19, s[12:13] offset:1500
	;; [unrolled: 1-line block ×5, first 2 shown]
	s_movk_i32 s18, 0x1ff
	s_waitcnt lgkmcnt(0)
	v_lshrrev_b32_e32 v18, 16, v0
	s_movk_i32 s17, 0xffe
	s_movk_i32 s16, 0x40f
	s_mov_b32 s10, 0x8000
	s_waitcnt vmcnt(6)
	v_mul_f16_sdwa v3, v12, v6 dst_sel:DWORD dst_unused:UNUSED_PAD src0_sel:DWORD src1_sel:WORD_1
	v_fma_f16 v3, v17, v6, v3
	v_mul_f16_sdwa v16, v17, v6 dst_sel:DWORD dst_unused:UNUSED_PAD src0_sel:DWORD src1_sel:WORD_1
	v_cvt_f32_f16_e32 v3, v3
	v_fma_f16 v6, v6, v12, -v16
	v_cvt_f32_f16_e32 v6, v6
	v_lshlrev_b64 v[12:13], 2, v[13:14]
	v_cvt_f64_f32_e32 v[16:17], v3
	s_waitcnt vmcnt(5)
	v_mul_f16_sdwa v3, v18, v5 dst_sel:DWORD dst_unused:UNUSED_PAD src0_sel:DWORD src1_sel:WORD_1
	v_cvt_f64_f32_e32 v[20:21], v6
	v_fma_f16 v3, v0, v5, v3
	v_mul_f64 v[16:17], v[16:17], s[14:15]
	v_cvt_f32_f16_e32 v6, v3
	v_mul_f64 v[20:21], v[20:21], s[14:15]
	v_mov_b32_e32 v3, v15
	v_lshlrev_b64 v[2:3], 2, v[2:3]
	v_cvt_f64_f32_e32 v[14:15], v6
	v_mul_f16_sdwa v0, v0, v5 dst_sel:DWORD dst_unused:UNUSED_PAD src0_sel:DWORD src1_sel:WORD_1
	v_fma_f16 v0, v5, v18, -v0
	v_and_or_b32 v6, v17, s18, v16
	v_cmp_ne_u32_e32 vcc, 0, v6
	v_and_or_b32 v20, v21, s18, v20
	v_lshrrev_b32_e32 v16, 8, v17
	v_bfe_u32 v22, v17, 20, 11
	v_cndmask_b32_e64 v6, 0, 1, vcc
	v_cmp_ne_u32_e32 vcc, 0, v20
	v_lshrrev_b32_e32 v23, 8, v21
	v_bfe_u32 v24, v21, 20, 11
	v_sub_u32_e32 v25, 0x3f1, v22
	v_cndmask_b32_e64 v20, 0, 1, vcc
	v_and_or_b32 v6, v16, s17, v6
	v_sub_u32_e32 v26, 0x3f1, v24
	v_med3_i32 v16, v25, 0, 13
	v_and_or_b32 v20, v23, s17, v20
	v_or_b32_e32 v25, 0x1000, v6
	v_add_u32_e32 v22, 0xfffffc10, v22
	v_med3_i32 v23, v26, 0, 13
	v_cmp_ne_u32_e32 vcc, 0, v6
	v_or_b32_e32 v27, 0x1000, v20
	v_lshrrev_b32_e32 v29, v16, v25
	v_add_u32_e32 v24, 0xfffffc10, v24
	v_lshl_or_b32 v26, v22, 12, v6
	v_cndmask_b32_e64 v6, 0, 1, vcc
	v_cmp_ne_u32_e32 vcc, 0, v20
	v_lshrrev_b32_e32 v30, v23, v27
	v_lshlrev_b32_e32 v16, v16, v29
	v_lshl_or_b32 v28, v24, 12, v20
	v_cndmask_b32_e64 v20, 0, 1, vcc
	v_lshlrev_b32_e32 v23, v23, v30
	v_cmp_ne_u32_e32 vcc, v16, v25
	v_cndmask_b32_e64 v16, 0, 1, vcc
	v_cmp_ne_u32_e32 vcc, v23, v27
	v_cndmask_b32_e64 v23, 0, 1, vcc
	v_or_b32_e32 v16, v29, v16
	v_cmp_gt_i32_e32 vcc, 1, v22
	v_cndmask_b32_e32 v16, v26, v16, vcc
	v_or_b32_e32 v23, v30, v23
	v_cmp_gt_i32_e32 vcc, 1, v24
	v_and_b32_e32 v25, 7, v16
	v_cndmask_b32_e32 v23, v28, v23, vcc
	v_cmp_lt_i32_e32 vcc, 5, v25
	v_cmp_eq_u32_e64 s[0:1], 3, v25
	v_lshrrev_b32_e32 v16, 2, v16
	v_and_b32_e32 v26, 7, v23
	s_or_b64 vcc, s[0:1], vcc
	v_cmp_lt_i32_e64 s[2:3], 5, v26
	v_cmp_eq_u32_e64 s[4:5], 3, v26
	v_addc_co_u32_e32 v16, vcc, 0, v16, vcc
	v_lshrrev_b32_e32 v23, 2, v23
	s_or_b64 vcc, s[4:5], s[2:3]
	v_addc_co_u32_e32 v23, vcc, 0, v23, vcc
	v_cmp_gt_i32_e32 vcc, 31, v22
	v_cndmask_b32_e32 v16, v4, v16, vcc
	v_cmp_gt_i32_e32 vcc, 31, v24
	v_lshl_or_b32 v6, v6, 9, v4
	v_cndmask_b32_e32 v23, v4, v23, vcc
	v_cmp_eq_u32_e32 vcc, s16, v22
	v_mul_f64 v[14:15], v[14:15], s[14:15]
	v_lshrrev_b32_e32 v17, 16, v17
	v_lshl_or_b32 v20, v20, 9, v4
	v_cndmask_b32_e32 v6, v16, v6, vcc
	v_cmp_eq_u32_e32 vcc, s16, v24
	v_lshrrev_b32_e32 v21, 16, v21
	v_cndmask_b32_e32 v16, v23, v20, vcc
	v_and_or_b32 v6, v17, s10, v6
	v_and_or_b32 v16, v21, s10, v16
	v_and_b32_e32 v6, 0xffff, v6
	v_lshl_or_b32 v6, v16, 16, v6
	v_mov_b32_e32 v16, s7
	v_add_co_u32_e32 v12, vcc, s6, v12
	v_addc_co_u32_e32 v13, vcc, v16, v13, vcc
	v_add_co_u32_e32 v2, vcc, v12, v2
	v_addc_co_u32_e32 v3, vcc, v13, v3, vcc
	global_store_dword v[2:3], v6, off
	v_and_or_b32 v6, v15, s18, v14
	v_cmp_ne_u32_e32 vcc, 0, v6
	v_cndmask_b32_e64 v6, 0, 1, vcc
	v_lshrrev_b32_e32 v12, 8, v15
	v_bfe_u32 v13, v15, 20, 11
	v_and_or_b32 v12, v12, s17, v6
	v_sub_u32_e32 v14, 0x3f1, v13
	v_or_b32_e32 v6, 0x1000, v12
	v_med3_i32 v14, v14, 0, 13
	v_lshrrev_b32_e32 v16, v14, v6
	v_lshlrev_b32_e32 v14, v14, v16
	v_cmp_ne_u32_e32 vcc, v14, v6
	v_cndmask_b32_e64 v6, 0, 1, vcc
	v_add_u32_e32 v13, 0xfffffc10, v13
	v_cvt_f32_f16_e32 v0, v0
	v_or_b32_e32 v6, v16, v6
	v_lshl_or_b32 v14, v13, 12, v12
	v_cmp_gt_i32_e32 vcc, 1, v13
	v_cndmask_b32_e32 v6, v14, v6, vcc
	v_and_b32_e32 v14, 7, v6
	v_cmp_lt_i32_e32 vcc, 5, v14
	v_cmp_eq_u32_e64 s[0:1], 3, v14
	v_lshrrev_b32_e32 v14, 2, v6
	v_cvt_f64_f32_e32 v[5:6], v0
	s_or_b64 vcc, s[0:1], vcc
	v_addc_co_u32_e32 v0, vcc, 0, v14, vcc
	v_mul_f64 v[5:6], v[5:6], s[14:15]
	v_cmp_gt_i32_e32 vcc, 31, v13
	v_cndmask_b32_e32 v0, v4, v0, vcc
	v_cmp_ne_u32_e32 vcc, 0, v12
	v_cndmask_b32_e64 v12, 0, 1, vcc
	v_lshl_or_b32 v12, v12, 9, v4
	v_cmp_eq_u32_e32 vcc, s16, v13
	v_cndmask_b32_e32 v0, v0, v12, vcc
	v_and_or_b32 v5, v6, s18, v5
	v_lshrrev_b32_e32 v12, 16, v15
	v_cmp_ne_u32_e32 vcc, 0, v5
	v_and_or_b32 v0, v12, s10, v0
	v_cndmask_b32_e64 v5, 0, 1, vcc
	v_lshrrev_b32_e32 v12, 8, v6
	v_bfe_u32 v13, v6, 20, 11
	v_and_or_b32 v5, v12, s17, v5
	v_sub_u32_e32 v14, 0x3f1, v13
	v_or_b32_e32 v12, 0x1000, v5
	v_med3_i32 v14, v14, 0, 13
	v_lshrrev_b32_e32 v15, v14, v12
	v_lshlrev_b32_e32 v14, v14, v15
	v_cmp_ne_u32_e32 vcc, v14, v12
	v_cndmask_b32_e64 v12, 0, 1, vcc
	v_add_u32_e32 v13, 0xfffffc10, v13
	v_or_b32_e32 v12, v15, v12
	v_lshl_or_b32 v14, v13, 12, v5
	v_cmp_gt_i32_e32 vcc, 1, v13
	v_cndmask_b32_e32 v12, v14, v12, vcc
	v_and_b32_e32 v14, 7, v12
	v_cmp_lt_i32_e32 vcc, 5, v14
	v_cmp_eq_u32_e64 s[0:1], 3, v14
	v_lshrrev_b32_e32 v12, 2, v12
	s_or_b64 vcc, s[0:1], vcc
	v_addc_co_u32_e32 v12, vcc, 0, v12, vcc
	v_cmp_gt_i32_e32 vcc, 31, v13
	v_cndmask_b32_e32 v12, v4, v12, vcc
	v_cmp_ne_u32_e32 vcc, 0, v5
	v_cndmask_b32_e64 v5, 0, 1, vcc
	v_lshl_or_b32 v5, v5, 9, v4
	v_cmp_eq_u32_e32 vcc, s16, v13
	v_cndmask_b32_e32 v5, v12, v5, vcc
	v_lshrrev_b32_e32 v12, 16, v1
	s_waitcnt vmcnt(5)
	v_mul_f16_sdwa v13, v12, v7 dst_sel:DWORD dst_unused:UNUSED_PAD src0_sel:DWORD src1_sel:WORD_1
	v_fma_f16 v13, v1, v7, v13
	v_cvt_f32_f16_e32 v13, v13
	v_lshrrev_b32_e32 v6, 16, v6
	v_and_or_b32 v5, v6, s10, v5
	v_and_b32_e32 v0, 0xffff, v0
	v_lshl_or_b32 v0, v5, 16, v0
	v_cvt_f64_f32_e32 v[5:6], v13
	s_mul_i32 s0, s9, 0x1f4
	s_mul_hi_u32 s2, s8, 0x1f4
	s_add_i32 s2, s2, s0
	v_mul_f64 v[5:6], v[5:6], s[14:15]
	s_mul_i32 s3, s8, 0x1f4
	v_mov_b32_e32 v13, s2
	v_add_co_u32_e32 v2, vcc, s3, v2
	v_addc_co_u32_e32 v3, vcc, v3, v13, vcc
	global_store_dword v[2:3], v0, off
	v_and_or_b32 v0, v6, s18, v5
	v_cmp_ne_u32_e32 vcc, 0, v0
	v_cndmask_b32_e64 v0, 0, 1, vcc
	v_lshrrev_b32_e32 v5, 8, v6
	v_bfe_u32 v13, v6, 20, 11
	v_and_or_b32 v5, v5, s17, v0
	v_sub_u32_e32 v14, 0x3f1, v13
	v_or_b32_e32 v0, 0x1000, v5
	v_med3_i32 v14, v14, 0, 13
	v_lshrrev_b32_e32 v15, v14, v0
	v_mul_f16_sdwa v1, v1, v7 dst_sel:DWORD dst_unused:UNUSED_PAD src0_sel:DWORD src1_sel:WORD_1
	v_lshlrev_b32_e32 v14, v14, v15
	v_fma_f16 v1, v7, v12, -v1
	v_cmp_ne_u32_e32 vcc, v14, v0
	v_cvt_f32_f16_e32 v1, v1
	v_cndmask_b32_e64 v0, 0, 1, vcc
	v_add_u32_e32 v13, 0xfffffc10, v13
	v_or_b32_e32 v0, v15, v0
	v_lshl_or_b32 v14, v13, 12, v5
	v_cmp_gt_i32_e32 vcc, 1, v13
	v_cndmask_b32_e32 v0, v14, v0, vcc
	v_and_b32_e32 v14, 7, v0
	v_lshrrev_b32_e32 v7, 2, v0
	v_cvt_f64_f32_e32 v[0:1], v1
	v_cmp_lt_i32_e32 vcc, 5, v14
	v_cmp_eq_u32_e64 s[0:1], 3, v14
	s_or_b64 vcc, s[0:1], vcc
	v_mul_f64 v[0:1], v[0:1], s[14:15]
	v_addc_co_u32_e32 v7, vcc, 0, v7, vcc
	v_cmp_gt_i32_e32 vcc, 31, v13
	v_cndmask_b32_e32 v7, v4, v7, vcc
	v_cmp_ne_u32_e32 vcc, 0, v5
	v_cndmask_b32_e64 v5, 0, 1, vcc
	v_lshl_or_b32 v5, v5, 9, v4
	v_cmp_eq_u32_e32 vcc, s16, v13
	v_and_or_b32 v0, v1, s18, v0
	v_cndmask_b32_e32 v5, v7, v5, vcc
	v_lshrrev_b32_e32 v6, 16, v6
	v_cmp_ne_u32_e32 vcc, 0, v0
	v_and_or_b32 v7, v6, s10, v5
	v_cndmask_b32_e64 v0, 0, 1, vcc
	v_lshrrev_b32_e32 v5, 8, v1
	v_bfe_u32 v6, v1, 20, 11
	v_and_or_b32 v0, v5, s17, v0
	v_sub_u32_e32 v12, 0x3f1, v6
	v_or_b32_e32 v5, 0x1000, v0
	v_med3_i32 v12, v12, 0, 13
	v_lshrrev_b32_e32 v13, v12, v5
	v_lshlrev_b32_e32 v12, v12, v13
	v_cmp_ne_u32_e32 vcc, v12, v5
	v_cndmask_b32_e64 v5, 0, 1, vcc
	v_add_u32_e32 v12, 0xfffffc10, v6
	v_or_b32_e32 v5, v13, v5
	v_lshl_or_b32 v6, v12, 12, v0
	v_cmp_gt_i32_e32 vcc, 1, v12
	v_cndmask_b32_e32 v5, v6, v5, vcc
	v_and_b32_e32 v6, 7, v5
	v_cmp_lt_i32_e32 vcc, 5, v6
	v_cmp_eq_u32_e64 s[0:1], 3, v6
	v_lshrrev_b32_e32 v5, 2, v5
	s_or_b64 vcc, s[0:1], vcc
	v_addc_co_u32_e32 v13, vcc, 0, v5, vcc
	v_add_u32_e32 v5, 0x400, v19
	ds_read2_b32 v[5:6], v5 offset0:119 offset1:244
	v_cmp_gt_i32_e32 vcc, 31, v12
	v_cndmask_b32_e32 v13, v4, v13, vcc
	v_cmp_ne_u32_e32 vcc, 0, v0
	v_cndmask_b32_e64 v0, 0, 1, vcc
	s_waitcnt lgkmcnt(0)
	v_lshrrev_b32_e32 v14, 16, v5
	s_waitcnt vmcnt(5)
	v_mul_f16_sdwa v15, v14, v9 dst_sel:DWORD dst_unused:UNUSED_PAD src0_sel:DWORD src1_sel:WORD_1
	v_fma_f16 v15, v5, v9, v15
	v_cvt_f32_f16_e32 v15, v15
	v_lshl_or_b32 v0, v0, 9, v4
	v_cmp_eq_u32_e32 vcc, s16, v12
	v_cndmask_b32_e32 v0, v13, v0, vcc
	v_cvt_f64_f32_e32 v[12:13], v15
	v_lshrrev_b32_e32 v1, 16, v1
	v_and_or_b32 v15, v1, s10, v0
	v_add_co_u32_e32 v2, vcc, s3, v2
	v_mul_f64 v[0:1], v[12:13], s[14:15]
	v_mov_b32_e32 v12, s2
	v_and_b32_e32 v7, 0xffff, v7
	v_addc_co_u32_e32 v3, vcc, v3, v12, vcc
	v_lshl_or_b32 v7, v15, 16, v7
	global_store_dword v[2:3], v7, off
	v_mul_f16_sdwa v5, v5, v9 dst_sel:DWORD dst_unused:UNUSED_PAD src0_sel:DWORD src1_sel:WORD_1
	v_and_or_b32 v0, v1, s18, v0
	v_cmp_ne_u32_e32 vcc, 0, v0
	v_cndmask_b32_e64 v0, 0, 1, vcc
	v_lshrrev_b32_e32 v7, 8, v1
	v_bfe_u32 v12, v1, 20, 11
	v_and_or_b32 v0, v7, s17, v0
	v_sub_u32_e32 v13, 0x3f1, v12
	v_or_b32_e32 v7, 0x1000, v0
	v_med3_i32 v13, v13, 0, 13
	v_lshrrev_b32_e32 v15, v13, v7
	v_lshlrev_b32_e32 v13, v13, v15
	v_cmp_ne_u32_e32 vcc, v13, v7
	v_cndmask_b32_e64 v7, 0, 1, vcc
	v_fma_f16 v5, v9, v14, -v5
	v_or_b32_e32 v7, v15, v7
	v_add_u32_e32 v15, 0xfffffc10, v12
	v_cvt_f32_f16_e32 v5, v5
	v_lshl_or_b32 v12, v15, 12, v0
	v_cmp_gt_i32_e32 vcc, 1, v15
	v_cndmask_b32_e32 v7, v12, v7, vcc
	v_and_b32_e32 v12, 7, v7
	v_cmp_lt_i32_e32 vcc, 5, v12
	v_cmp_eq_u32_e64 s[0:1], 3, v12
	v_cvt_f64_f32_e32 v[12:13], v5
	v_lshrrev_b32_e32 v7, 2, v7
	s_or_b64 vcc, s[0:1], vcc
	v_addc_co_u32_e32 v5, vcc, 0, v7, vcc
	v_mul_f64 v[12:13], v[12:13], s[14:15]
	v_cmp_gt_i32_e32 vcc, 31, v15
	v_cndmask_b32_e32 v5, v4, v5, vcc
	v_cmp_ne_u32_e32 vcc, 0, v0
	v_cndmask_b32_e64 v0, 0, 1, vcc
	v_lshl_or_b32 v0, v0, 9, v4
	v_cmp_eq_u32_e32 vcc, s16, v15
	v_cndmask_b32_e32 v0, v5, v0, vcc
	v_lshrrev_b32_e32 v1, 16, v1
	v_and_or_b32 v5, v1, s10, v0
	v_and_or_b32 v0, v13, s18, v12
	v_cmp_ne_u32_e32 vcc, 0, v0
	v_cndmask_b32_e64 v0, 0, 1, vcc
	v_lshrrev_b32_e32 v1, 8, v13
	v_bfe_u32 v7, v13, 20, 11
	v_and_or_b32 v0, v1, s17, v0
	v_sub_u32_e32 v9, 0x3f1, v7
	v_or_b32_e32 v1, 0x1000, v0
	v_med3_i32 v9, v9, 0, 13
	v_lshrrev_b32_e32 v12, v9, v1
	v_lshlrev_b32_e32 v9, v9, v12
	v_cmp_ne_u32_e32 vcc, v9, v1
	v_cndmask_b32_e64 v1, 0, 1, vcc
	v_add_u32_e32 v7, 0xfffffc10, v7
	v_or_b32_e32 v1, v12, v1
	v_lshl_or_b32 v9, v7, 12, v0
	v_cmp_gt_i32_e32 vcc, 1, v7
	v_cndmask_b32_e32 v1, v9, v1, vcc
	v_and_b32_e32 v9, 7, v1
	v_cmp_lt_i32_e32 vcc, 5, v9
	v_cmp_eq_u32_e64 s[0:1], 3, v9
	v_lshrrev_b32_e32 v9, 16, v6
	v_lshrrev_b32_e32 v1, 2, v1
	s_or_b64 vcc, s[0:1], vcc
	s_waitcnt vmcnt(5)
	v_mul_f16_sdwa v12, v9, v10 dst_sel:DWORD dst_unused:UNUSED_PAD src0_sel:DWORD src1_sel:WORD_1
	v_addc_co_u32_e32 v1, vcc, 0, v1, vcc
	v_fma_f16 v12, v6, v10, v12
	v_cmp_gt_i32_e32 vcc, 31, v7
	v_cvt_f32_f16_e32 v12, v12
	v_cndmask_b32_e32 v1, v4, v1, vcc
	v_cmp_ne_u32_e32 vcc, 0, v0
	v_cndmask_b32_e64 v0, 0, 1, vcc
	v_lshl_or_b32 v0, v0, 9, v4
	v_cmp_eq_u32_e32 vcc, s16, v7
	v_cndmask_b32_e32 v7, v1, v0, vcc
	v_cvt_f64_f32_e32 v[0:1], v12
	v_lshrrev_b32_e32 v12, 16, v13
	v_and_or_b32 v7, v12, s10, v7
	v_and_b32_e32 v5, 0xffff, v5
	v_mul_f64 v[0:1], v[0:1], s[14:15]
	v_lshl_or_b32 v5, v7, 16, v5
	v_mov_b32_e32 v7, s2
	v_add_co_u32_e32 v2, vcc, s3, v2
	v_addc_co_u32_e32 v3, vcc, v3, v7, vcc
	global_store_dword v[2:3], v5, off
	v_and_or_b32 v0, v1, s18, v0
	v_cmp_ne_u32_e32 vcc, 0, v0
	v_cndmask_b32_e64 v0, 0, 1, vcc
	v_lshrrev_b32_e32 v5, 8, v1
	v_bfe_u32 v7, v1, 20, 11
	v_and_or_b32 v0, v5, s17, v0
	v_sub_u32_e32 v12, 0x3f1, v7
	v_or_b32_e32 v5, 0x1000, v0
	v_med3_i32 v12, v12, 0, 13
	v_lshrrev_b32_e32 v13, v12, v5
	v_mul_f16_sdwa v6, v6, v10 dst_sel:DWORD dst_unused:UNUSED_PAD src0_sel:DWORD src1_sel:WORD_1
	v_lshlrev_b32_e32 v12, v12, v13
	v_fma_f16 v6, v10, v9, -v6
	v_cmp_ne_u32_e32 vcc, v12, v5
	v_cvt_f32_f16_e32 v6, v6
	v_cndmask_b32_e64 v5, 0, 1, vcc
	v_add_u32_e32 v7, 0xfffffc10, v7
	v_or_b32_e32 v5, v13, v5
	v_lshl_or_b32 v12, v7, 12, v0
	v_cmp_gt_i32_e32 vcc, 1, v7
	v_cndmask_b32_e32 v5, v12, v5, vcc
	v_and_b32_e32 v12, 7, v5
	v_lshrrev_b32_e32 v9, 2, v5
	v_cvt_f64_f32_e32 v[5:6], v6
	v_cmp_lt_i32_e32 vcc, 5, v12
	v_cmp_eq_u32_e64 s[0:1], 3, v12
	s_or_b64 vcc, s[0:1], vcc
	v_mul_f64 v[5:6], v[5:6], s[14:15]
	v_addc_co_u32_e32 v9, vcc, 0, v9, vcc
	v_cmp_gt_i32_e32 vcc, 31, v7
	v_cndmask_b32_e32 v9, v4, v9, vcc
	v_cmp_ne_u32_e32 vcc, 0, v0
	v_cndmask_b32_e64 v0, 0, 1, vcc
	v_lshl_or_b32 v0, v0, 9, v4
	v_cmp_eq_u32_e32 vcc, s16, v7
	v_cndmask_b32_e32 v0, v9, v0, vcc
	v_lshrrev_b32_e32 v1, 16, v1
	v_and_or_b32 v7, v1, s10, v0
	v_and_or_b32 v0, v6, s18, v5
	v_cmp_ne_u32_e32 vcc, 0, v0
	v_cndmask_b32_e64 v0, 0, 1, vcc
	v_lshrrev_b32_e32 v1, 8, v6
	v_and_or_b32 v5, v1, s17, v0
	v_bfe_u32 v1, v6, 20, 11
	v_sub_u32_e32 v9, 0x3f1, v1
	v_or_b32_e32 v0, 0x1000, v5
	v_med3_i32 v9, v9, 0, 13
	v_lshrrev_b32_e32 v10, v9, v0
	v_lshlrev_b32_e32 v9, v9, v10
	v_cmp_ne_u32_e32 vcc, v9, v0
	v_cndmask_b32_e64 v0, 0, 1, vcc
	v_add_u32_e32 v9, 0xfffffc10, v1
	v_or_b32_e32 v0, v10, v0
	v_lshl_or_b32 v1, v9, 12, v5
	v_cmp_gt_i32_e32 vcc, 1, v9
	v_cndmask_b32_e32 v0, v1, v0, vcc
	v_and_b32_e32 v1, 7, v0
	v_cmp_lt_i32_e32 vcc, 5, v1
	v_cmp_eq_u32_e64 s[0:1], 3, v1
	v_lshrrev_b32_e32 v0, 2, v0
	s_or_b64 vcc, s[0:1], vcc
	v_addc_co_u32_e32 v10, vcc, 0, v0, vcc
	v_add_u32_e32 v0, 0x800, v19
	ds_read2_b32 v[0:1], v0 offset0:113 offset1:238
	v_cmp_gt_i32_e32 vcc, 31, v9
	v_cndmask_b32_e32 v10, v4, v10, vcc
	v_cmp_ne_u32_e32 vcc, 0, v5
	v_cndmask_b32_e64 v5, 0, 1, vcc
	s_waitcnt lgkmcnt(0)
	v_lshrrev_b32_e32 v12, 16, v0
	s_waitcnt vmcnt(5)
	v_mul_f16_sdwa v13, v12, v11 dst_sel:DWORD dst_unused:UNUSED_PAD src0_sel:DWORD src1_sel:WORD_1
	v_fma_f16 v13, v0, v11, v13
	v_cvt_f32_f16_e32 v13, v13
	v_lshl_or_b32 v5, v5, 9, v4
	v_cmp_eq_u32_e32 vcc, s16, v9
	v_cndmask_b32_e32 v5, v10, v5, vcc
	v_cvt_f64_f32_e32 v[9:10], v13
	v_lshrrev_b32_e32 v6, 16, v6
	v_and_or_b32 v13, v6, s10, v5
	v_add_co_u32_e32 v2, vcc, s3, v2
	v_mul_f64 v[5:6], v[9:10], s[14:15]
	v_mov_b32_e32 v9, s2
	v_and_b32_e32 v7, 0xffff, v7
	v_addc_co_u32_e32 v3, vcc, v3, v9, vcc
	v_lshl_or_b32 v7, v13, 16, v7
	global_store_dword v[2:3], v7, off
	v_mul_f16_sdwa v0, v0, v11 dst_sel:DWORD dst_unused:UNUSED_PAD src0_sel:DWORD src1_sel:WORD_1
	v_and_or_b32 v5, v6, s18, v5
	v_cmp_ne_u32_e32 vcc, 0, v5
	v_cndmask_b32_e64 v5, 0, 1, vcc
	v_lshrrev_b32_e32 v7, 8, v6
	v_bfe_u32 v9, v6, 20, 11
	v_and_or_b32 v5, v7, s17, v5
	v_sub_u32_e32 v10, 0x3f1, v9
	v_or_b32_e32 v7, 0x1000, v5
	v_med3_i32 v10, v10, 0, 13
	v_lshrrev_b32_e32 v13, v10, v7
	v_lshlrev_b32_e32 v10, v10, v13
	v_cmp_ne_u32_e32 vcc, v10, v7
	v_cndmask_b32_e64 v7, 0, 1, vcc
	v_fma_f16 v0, v11, v12, -v0
	v_or_b32_e32 v7, v13, v7
	v_add_u32_e32 v13, 0xfffffc10, v9
	v_cvt_f32_f16_e32 v0, v0
	v_lshl_or_b32 v9, v13, 12, v5
	v_cmp_gt_i32_e32 vcc, 1, v13
	v_cndmask_b32_e32 v7, v9, v7, vcc
	v_and_b32_e32 v9, 7, v7
	v_cmp_lt_i32_e32 vcc, 5, v9
	v_cmp_eq_u32_e64 s[0:1], 3, v9
	v_cvt_f64_f32_e32 v[9:10], v0
	v_lshrrev_b32_e32 v7, 2, v7
	s_or_b64 vcc, s[0:1], vcc
	v_addc_co_u32_e32 v0, vcc, 0, v7, vcc
	v_mul_f64 v[9:10], v[9:10], s[14:15]
	v_cmp_gt_i32_e32 vcc, 31, v13
	v_cndmask_b32_e32 v0, v4, v0, vcc
	v_cmp_ne_u32_e32 vcc, 0, v5
	v_cndmask_b32_e64 v5, 0, 1, vcc
	v_lshl_or_b32 v5, v5, 9, v4
	v_cmp_eq_u32_e32 vcc, s16, v13
	v_cndmask_b32_e32 v0, v0, v5, vcc
	v_lshrrev_b32_e32 v5, 16, v6
	v_and_or_b32 v0, v5, s10, v0
	v_and_or_b32 v5, v10, s18, v9
	v_cmp_ne_u32_e32 vcc, 0, v5
	v_cndmask_b32_e64 v5, 0, 1, vcc
	v_lshrrev_b32_e32 v6, 8, v10
	v_bfe_u32 v7, v10, 20, 11
	v_and_or_b32 v5, v6, s17, v5
	v_sub_u32_e32 v9, 0x3f1, v7
	v_or_b32_e32 v6, 0x1000, v5
	v_med3_i32 v9, v9, 0, 13
	v_lshrrev_b32_e32 v11, v9, v6
	v_lshlrev_b32_e32 v9, v9, v11
	v_cmp_ne_u32_e32 vcc, v9, v6
	v_cndmask_b32_e64 v6, 0, 1, vcc
	v_add_u32_e32 v7, 0xfffffc10, v7
	v_or_b32_e32 v6, v11, v6
	v_lshl_or_b32 v9, v7, 12, v5
	v_cmp_gt_i32_e32 vcc, 1, v7
	v_cndmask_b32_e32 v6, v9, v6, vcc
	v_and_b32_e32 v9, 7, v6
	v_cmp_lt_i32_e32 vcc, 5, v9
	v_cmp_eq_u32_e64 s[0:1], 3, v9
	v_lshrrev_b32_e32 v9, 16, v1
	v_lshrrev_b32_e32 v6, 2, v6
	s_or_b64 vcc, s[0:1], vcc
	s_waitcnt vmcnt(5)
	v_mul_f16_sdwa v11, v9, v8 dst_sel:DWORD dst_unused:UNUSED_PAD src0_sel:DWORD src1_sel:WORD_1
	v_addc_co_u32_e32 v6, vcc, 0, v6, vcc
	v_fma_f16 v11, v1, v8, v11
	v_cmp_gt_i32_e32 vcc, 31, v7
	v_cvt_f32_f16_e32 v11, v11
	v_cndmask_b32_e32 v6, v4, v6, vcc
	v_cmp_ne_u32_e32 vcc, 0, v5
	v_cndmask_b32_e64 v5, 0, 1, vcc
	v_lshl_or_b32 v5, v5, 9, v4
	v_cmp_eq_u32_e32 vcc, s16, v7
	v_cndmask_b32_e32 v7, v6, v5, vcc
	v_cvt_f64_f32_e32 v[5:6], v11
	v_lshrrev_b32_e32 v10, 16, v10
	v_and_or_b32 v7, v10, s10, v7
	v_and_b32_e32 v0, 0xffff, v0
	v_mul_f64 v[5:6], v[5:6], s[14:15]
	v_lshl_or_b32 v0, v7, 16, v0
	v_mov_b32_e32 v7, s2
	v_add_co_u32_e32 v2, vcc, s3, v2
	v_addc_co_u32_e32 v3, vcc, v3, v7, vcc
	global_store_dword v[2:3], v0, off
	v_and_or_b32 v0, v6, s18, v5
	v_cmp_ne_u32_e32 vcc, 0, v0
	v_cndmask_b32_e64 v0, 0, 1, vcc
	v_lshrrev_b32_e32 v5, 8, v6
	v_bfe_u32 v7, v6, 20, 11
	v_and_or_b32 v5, v5, s17, v0
	v_sub_u32_e32 v10, 0x3f1, v7
	v_or_b32_e32 v0, 0x1000, v5
	v_med3_i32 v10, v10, 0, 13
	v_lshrrev_b32_e32 v11, v10, v0
	v_mul_f16_sdwa v1, v1, v8 dst_sel:DWORD dst_unused:UNUSED_PAD src0_sel:DWORD src1_sel:WORD_1
	v_lshlrev_b32_e32 v10, v10, v11
	v_fma_f16 v1, v8, v9, -v1
	v_cmp_ne_u32_e32 vcc, v10, v0
	v_cvt_f32_f16_e32 v1, v1
	v_cndmask_b32_e64 v0, 0, 1, vcc
	v_add_u32_e32 v7, 0xfffffc10, v7
	v_or_b32_e32 v0, v11, v0
	v_lshl_or_b32 v10, v7, 12, v5
	v_cmp_gt_i32_e32 vcc, 1, v7
	v_cndmask_b32_e32 v0, v10, v0, vcc
	v_and_b32_e32 v10, 7, v0
	v_lshrrev_b32_e32 v8, 2, v0
	v_cvt_f64_f32_e32 v[0:1], v1
	v_cmp_lt_i32_e32 vcc, 5, v10
	v_cmp_eq_u32_e64 s[0:1], 3, v10
	s_or_b64 vcc, s[0:1], vcc
	v_mul_f64 v[0:1], v[0:1], s[14:15]
	v_addc_co_u32_e32 v8, vcc, 0, v8, vcc
	v_cmp_gt_i32_e32 vcc, 31, v7
	v_cndmask_b32_e32 v8, v4, v8, vcc
	v_cmp_ne_u32_e32 vcc, 0, v5
	v_cndmask_b32_e64 v5, 0, 1, vcc
	v_lshl_or_b32 v5, v5, 9, v4
	v_cmp_eq_u32_e32 vcc, s16, v7
	v_and_or_b32 v0, v1, s18, v0
	v_cndmask_b32_e32 v5, v8, v5, vcc
	v_lshrrev_b32_e32 v6, 16, v6
	v_cmp_ne_u32_e32 vcc, 0, v0
	v_and_or_b32 v5, v6, s10, v5
	v_cndmask_b32_e64 v0, 0, 1, vcc
	v_lshrrev_b32_e32 v6, 8, v1
	v_bfe_u32 v7, v1, 20, 11
	v_and_or_b32 v0, v6, s17, v0
	v_sub_u32_e32 v8, 0x3f1, v7
	v_or_b32_e32 v6, 0x1000, v0
	v_med3_i32 v8, v8, 0, 13
	v_lshrrev_b32_e32 v9, v8, v6
	v_lshlrev_b32_e32 v8, v8, v9
	v_cmp_ne_u32_e32 vcc, v8, v6
	v_cndmask_b32_e64 v6, 0, 1, vcc
	v_add_u32_e32 v7, 0xfffffc10, v7
	v_or_b32_e32 v6, v9, v6
	v_lshl_or_b32 v8, v7, 12, v0
	v_cmp_gt_i32_e32 vcc, 1, v7
	v_cndmask_b32_e32 v6, v8, v6, vcc
	v_and_b32_e32 v8, 7, v6
	v_cmp_lt_i32_e32 vcc, 5, v8
	v_cmp_eq_u32_e64 s[0:1], 3, v8
	v_lshrrev_b32_e32 v6, 2, v6
	s_or_b64 vcc, s[0:1], vcc
	v_addc_co_u32_e32 v6, vcc, 0, v6, vcc
	v_cmp_gt_i32_e32 vcc, 31, v7
	v_cndmask_b32_e32 v6, v4, v6, vcc
	v_cmp_ne_u32_e32 vcc, 0, v0
	v_cndmask_b32_e64 v0, 0, 1, vcc
	v_lshl_or_b32 v0, v0, 9, v4
	v_cmp_eq_u32_e32 vcc, s16, v7
	v_cndmask_b32_e32 v0, v6, v0, vcc
	v_lshrrev_b32_e32 v1, 16, v1
	v_and_or_b32 v0, v1, s10, v0
	v_and_b32_e32 v1, 0xffff, v5
	v_lshl_or_b32 v4, v0, 16, v1
	v_mov_b32_e32 v1, s2
	v_add_co_u32_e32 v0, vcc, s3, v2
	v_addc_co_u32_e32 v1, vcc, v3, v1, vcc
	global_store_dword v[0:1], v4, off
.LBB0_15:
	s_endpgm
	.section	.rodata,"a",@progbits
	.p2align	6, 0x0
	.amdhsa_kernel bluestein_single_back_len875_dim1_half_op_CI_CI
		.amdhsa_group_segment_fixed_size 3500
		.amdhsa_private_segment_fixed_size 0
		.amdhsa_kernarg_size 104
		.amdhsa_user_sgpr_count 6
		.amdhsa_user_sgpr_private_segment_buffer 1
		.amdhsa_user_sgpr_dispatch_ptr 0
		.amdhsa_user_sgpr_queue_ptr 0
		.amdhsa_user_sgpr_kernarg_segment_ptr 1
		.amdhsa_user_sgpr_dispatch_id 0
		.amdhsa_user_sgpr_flat_scratch_init 0
		.amdhsa_user_sgpr_private_segment_size 0
		.amdhsa_uses_dynamic_stack 0
		.amdhsa_system_sgpr_private_segment_wavefront_offset 0
		.amdhsa_system_sgpr_workgroup_id_x 1
		.amdhsa_system_sgpr_workgroup_id_y 0
		.amdhsa_system_sgpr_workgroup_id_z 0
		.amdhsa_system_sgpr_workgroup_info 0
		.amdhsa_system_vgpr_workitem_id 0
		.amdhsa_next_free_vgpr 52
		.amdhsa_next_free_sgpr 20
		.amdhsa_reserve_vcc 1
		.amdhsa_reserve_flat_scratch 0
		.amdhsa_float_round_mode_32 0
		.amdhsa_float_round_mode_16_64 0
		.amdhsa_float_denorm_mode_32 3
		.amdhsa_float_denorm_mode_16_64 3
		.amdhsa_dx10_clamp 1
		.amdhsa_ieee_mode 1
		.amdhsa_fp16_overflow 0
		.amdhsa_exception_fp_ieee_invalid_op 0
		.amdhsa_exception_fp_denorm_src 0
		.amdhsa_exception_fp_ieee_div_zero 0
		.amdhsa_exception_fp_ieee_overflow 0
		.amdhsa_exception_fp_ieee_underflow 0
		.amdhsa_exception_fp_ieee_inexact 0
		.amdhsa_exception_int_div_zero 0
	.end_amdhsa_kernel
	.text
.Lfunc_end0:
	.size	bluestein_single_back_len875_dim1_half_op_CI_CI, .Lfunc_end0-bluestein_single_back_len875_dim1_half_op_CI_CI
                                        ; -- End function
	.section	.AMDGPU.csdata,"",@progbits
; Kernel info:
; codeLenInByte = 9972
; NumSgprs: 24
; NumVgprs: 52
; ScratchSize: 0
; MemoryBound: 0
; FloatMode: 240
; IeeeMode: 1
; LDSByteSize: 3500 bytes/workgroup (compile time only)
; SGPRBlocks: 2
; VGPRBlocks: 12
; NumSGPRsForWavesPerEU: 24
; NumVGPRsForWavesPerEU: 52
; Occupancy: 4
; WaveLimiterHint : 1
; COMPUTE_PGM_RSRC2:SCRATCH_EN: 0
; COMPUTE_PGM_RSRC2:USER_SGPR: 6
; COMPUTE_PGM_RSRC2:TRAP_HANDLER: 0
; COMPUTE_PGM_RSRC2:TGID_X_EN: 1
; COMPUTE_PGM_RSRC2:TGID_Y_EN: 0
; COMPUTE_PGM_RSRC2:TGID_Z_EN: 0
; COMPUTE_PGM_RSRC2:TIDIG_COMP_CNT: 0
	.type	__hip_cuid_986d909e4dce7ddc,@object ; @__hip_cuid_986d909e4dce7ddc
	.section	.bss,"aw",@nobits
	.globl	__hip_cuid_986d909e4dce7ddc
__hip_cuid_986d909e4dce7ddc:
	.byte	0                               ; 0x0
	.size	__hip_cuid_986d909e4dce7ddc, 1

	.ident	"AMD clang version 19.0.0git (https://github.com/RadeonOpenCompute/llvm-project roc-6.4.0 25133 c7fe45cf4b819c5991fe208aaa96edf142730f1d)"
	.section	".note.GNU-stack","",@progbits
	.addrsig
	.addrsig_sym __hip_cuid_986d909e4dce7ddc
	.amdgpu_metadata
---
amdhsa.kernels:
  - .args:
      - .actual_access:  read_only
        .address_space:  global
        .offset:         0
        .size:           8
        .value_kind:     global_buffer
      - .actual_access:  read_only
        .address_space:  global
        .offset:         8
        .size:           8
        .value_kind:     global_buffer
      - .actual_access:  read_only
        .address_space:  global
        .offset:         16
        .size:           8
        .value_kind:     global_buffer
      - .actual_access:  read_only
        .address_space:  global
        .offset:         24
        .size:           8
        .value_kind:     global_buffer
      - .actual_access:  read_only
        .address_space:  global
        .offset:         32
        .size:           8
        .value_kind:     global_buffer
      - .offset:         40
        .size:           8
        .value_kind:     by_value
      - .address_space:  global
        .offset:         48
        .size:           8
        .value_kind:     global_buffer
      - .address_space:  global
        .offset:         56
        .size:           8
        .value_kind:     global_buffer
      - .address_space:  global
        .offset:         64
        .size:           8
        .value_kind:     global_buffer
      - .address_space:  global
        .offset:         72
        .size:           8
        .value_kind:     global_buffer
      - .offset:         80
        .size:           4
        .value_kind:     by_value
      - .address_space:  global
        .offset:         88
        .size:           8
        .value_kind:     global_buffer
      - .address_space:  global
        .offset:         96
        .size:           8
        .value_kind:     global_buffer
    .group_segment_fixed_size: 3500
    .kernarg_segment_align: 8
    .kernarg_segment_size: 104
    .language:       OpenCL C
    .language_version:
      - 2
      - 0
    .max_flat_workgroup_size: 175
    .name:           bluestein_single_back_len875_dim1_half_op_CI_CI
    .private_segment_fixed_size: 0
    .sgpr_count:     24
    .sgpr_spill_count: 0
    .symbol:         bluestein_single_back_len875_dim1_half_op_CI_CI.kd
    .uniform_work_group_size: 1
    .uses_dynamic_stack: false
    .vgpr_count:     52
    .vgpr_spill_count: 0
    .wavefront_size: 64
amdhsa.target:   amdgcn-amd-amdhsa--gfx906
amdhsa.version:
  - 1
  - 2
...

	.end_amdgpu_metadata
